;; amdgpu-corpus repo=zjin-lcf/HeCBench kind=compiled arch=gfx1250 opt=O3
	.amdgcn_target "amdgcn-amd-amdhsa--gfx1250"
	.amdhsa_code_object_version 6
	.section	.text._Z13relextrema_1DIiEviibPKT_Pb,"axG",@progbits,_Z13relextrema_1DIiEviibPKT_Pb,comdat
	.protected	_Z13relextrema_1DIiEviibPKT_Pb ; -- Begin function _Z13relextrema_1DIiEviibPKT_Pb
	.globl	_Z13relextrema_1DIiEviibPKT_Pb
	.p2align	8
	.type	_Z13relextrema_1DIiEviibPKT_Pb,@function
_Z13relextrema_1DIiEviibPKT_Pb:         ; @_Z13relextrema_1DIiEviibPKT_Pb
; %bb.0:
	s_clause 0x1
	s_load_b32 s2, s[0:1], 0x2c
	s_load_b96 s[8:10], s[0:1], 0x0
	s_bfe_u32 s3, ttmp6, 0x4000c
	s_and_b32 s4, ttmp6, 15
	s_add_co_i32 s3, s3, 1
	s_getreg_b32 s5, hwreg(HW_REG_IB_STS2, 6, 4)
	s_mul_i32 s3, ttmp9, s3
	s_delay_alu instid0(SALU_CYCLE_1)
	s_add_co_i32 s4, s4, s3
	s_mov_b32 s3, 0
	s_wait_kmcnt 0x0
	s_and_b32 s2, s2, 0xffff
	s_cmp_eq_u32 s5, 0
	s_cselect_b32 s12, ttmp9, s4
	s_mov_b32 s4, exec_lo
	s_mul_i32 s12, s12, s2
	s_delay_alu instid0(SALU_CYCLE_1) | instskip(NEXT) | instid1(VALU_DEP_1)
	v_add_nc_u32_e32 v6, s12, v0
	v_cmpx_gt_i32_e64 s8, v6
	s_cbranch_execz .LBB0_11
; %bb.1:
	s_add_nc_u64 s[14:15], s[0:1], 32
	s_load_b128 s[4:7], s[0:1], 0x10
	s_load_b32 s20, s[14:15], 0x0
	s_bitcmp1_b32 s10, 0
	v_add3_u32 v7, s12, s8, v0
	s_cselect_b32 s12, -1, 0
	s_cmp_gt_i32 s9, 0
	v_subrev_nc_u32_e32 v8, s8, v6
	s_cselect_b32 s13, -1, 0
	s_wait_xcnt 0x0
	s_add_co_i32 s14, s8, -1
	s_cmp_lg_u32 s9, 1
	v_mov_b32_e32 v0, v6
	s_cselect_b32 s16, -1, 0
	s_and_b32 s17, s9, 0x7ffffffe
	s_or_b32 s18, s9, 1
	s_cmp_lg_u32 s9, s17
	s_mov_b32 s10, s8
	s_mov_b32 s11, s8
	;; [unrolled: 1-line block ×3, first 2 shown]
	s_cselect_b32 s19, -1, 0
	s_add_co_i32 s9, s9, 1
	s_mov_b32 s21, 0
	s_wait_kmcnt 0x0
	s_mul_i32 s20, s20, s2
                                        ; implicit-def: $sgpr1
	s_branch .LBB0_3
.LBB0_2:                                ;   in Loop: Header=BB0_3 Depth=1
	s_wait_loadcnt 0x0
	s_wait_xcnt 0x0
	v_add_nc_u64_e32 v[2:3], s[6:7], v[0:1]
	v_add_nc_u32_e32 v0, s20, v0
	v_cndmask_b32_e64 v1, 0, 1, s1
	s_add_co_i32 s21, s21, s20
	s_delay_alu instid0(VALU_DEP_2)
	v_cmp_le_i32_e32 vcc_lo, s8, v0
	global_store_b8 v[2:3], v1, off
	s_or_b32 s3, vcc_lo, s3
	s_wait_xcnt 0x0
	s_and_not1_b32 exec_lo, exec_lo, s3
	s_cbranch_execz .LBB0_11
.LBB0_3:                                ; =>This Loop Header: Depth=1
                                        ;     Child Loop BB0_6 Depth 2
                                        ;     Child Loop BB0_10 Depth 2
	v_ashrrev_i32_e32 v1, 31, v0
	s_and_not1_b32 vcc_lo, exec_lo, s13
	s_or_b32 s1, s1, exec_lo
	s_cbranch_vccnz .LBB0_2
; %bb.4:                                ;   in Loop: Header=BB0_3 Depth=1
	s_delay_alu instid0(VALU_DEP_1)
	v_lshl_add_u64 v[2:3], v[0:1], 2, s[4:5]
	s_mov_b32 s0, 1
	s_mov_b32 s2, -1
	s_and_not1_b32 vcc_lo, exec_lo, s16
	s_mov_b32 s22, -1
	global_load_b32 v2, v[2:3], off
                                        ; implicit-def: $sgpr1
	s_cbranch_vccnz .LBB0_8
; %bb.5:                                ;   in Loop: Header=BB0_3 Depth=1
	s_wait_xcnt 0x0
	v_dual_mov_b32 v4, v0 :: v_dual_mov_b32 v3, v0
	s_wait_loadcnt 0x0
	v_mov_b32_e32 v5, v2
	s_mov_b32 s23, 2
	s_mov_b32 s24, 1
	s_mov_b32 s25, -1
	s_mov_b32 s26, s17
                                        ; implicit-def: $sgpr27
                                        ; implicit-def: $sgpr28
.LBB0_6:                                ;   Parent Loop BB0_3 Depth=1
                                        ; =>  This Inner Loop Header: Depth=2
	s_wait_xcnt 0x3
	v_subrev_nc_u32_e32 v11, s23, v3
	s_wait_xcnt 0x1
	v_dual_add_nc_u32 v9, s24, v4 :: v_dual_add_nc_u32 v10, s23, v3
	s_wait_xcnt 0x0
	v_subrev_nc_u32_e32 v12, s24, v4
	s_and_not1_b32 s28, s28, exec_lo
	v_add_nc_u32_e32 v15, s11, v11
	v_subrev_nc_u32_e32 v13, s10, v9
	v_subrev_nc_u32_e32 v14, s11, v10
	v_add_nc_u32_e32 v16, s10, v12
	v_cmp_gt_i32_e64 s2, 0, v11
	v_cndmask_b32_e64 v15, v15, 0, s12
	v_cmp_gt_i32_e64 s0, s11, v10
	v_cndmask_b32_e64 v14, v14, s15, s12
	v_cndmask_b32_e64 v13, v13, s14, s12
	v_cmp_gt_i32_e32 vcc_lo, s10, v9
	v_cndmask_b32_e64 v16, v16, 0, s12
	v_cmp_gt_i32_e64 s1, 0, v12
	v_dual_cndmask_b32 v11, v11, v15, s2 :: v_dual_cndmask_b32 v10, v14, v10, s0
	v_cndmask_b32_e32 v9, v13, v9, vcc_lo
	s_and_not1_b32 s27, s27, exec_lo
	v_cndmask_b32_e64 v12, v12, v16, s1
	s_clause 0x3
	global_load_b32 v13, v11, s[4:5] scale_offset
	global_load_b32 v14, v10, s[4:5] scale_offset
	;; [unrolled: 1-line block ×4, first 2 shown]
	s_add_co_i32 s26, s26, -2
	s_add_co_i32 s24, s24, 2
	s_add_co_i32 s23, s23, 2
	s_wait_loadcnt 0x3
	v_cmp_ge_i32_e64 s2, v5, v13
	s_wait_loadcnt 0x2
	v_cmp_gt_i32_e32 vcc_lo, v5, v14
	s_wait_loadcnt 0x1
	v_cmp_gt_i32_e64 s0, v2, v15
	s_wait_loadcnt 0x0
	v_cmp_ge_i32_e64 s1, v2, v16
	s_and_b32 s0, s0, s1
	s_and_b32 s1, vcc_lo, s2
	s_and_b32 s25, s25, s0
	s_and_b32 s22, s22, s1
	s_and_b32 s0, s25, exec_lo
	s_and_b32 s1, s22, exec_lo
	s_or_b32 s28, s28, s0
	s_or_b32 s27, s27, s1
	s_cmp_lg_u32 s26, 0
	s_cbranch_scc1 .LBB0_6
; %bb.7:                                ;   in Loop: Header=BB0_3 Depth=1
	v_cndmask_b32_e64 v3, 0, 1, s27
	v_cndmask_b32_e64 v4, 0, 1, s28
	s_mov_b32 s0, s18
	s_mov_b32 s22, s19
	s_delay_alu instid0(VALU_DEP_2) | instskip(NEXT) | instid1(VALU_DEP_1)
	v_lshlrev_b16 v3, 1, v3
	v_bitop3_b16 v3, v4, 3, v3 bitop3:0xc8
	s_delay_alu instid0(VALU_DEP_1)
	v_cmp_eq_u16_e64 s2, 3, v3
	s_mov_b32 s1, s2
.LBB0_8:                                ;   in Loop: Header=BB0_3 Depth=1
	s_and_b32 vcc_lo, exec_lo, s22
	s_cbranch_vccz .LBB0_2
; %bb.9:                                ;   in Loop: Header=BB0_3 Depth=1
	s_wait_xcnt 0x0
	v_subrev_nc_u32_e32 v3, s0, v6
	v_subrev_nc_u32_e32 v4, s0, v7
	v_dual_add_nc_u32 v5, s0, v6 :: v_dual_add_nc_u32 v9, s0, v8
	s_sub_co_i32 s22, s9, s0
                                        ; implicit-def: $sgpr1
.LBB0_10:                               ;   Parent Loop BB0_3 Depth=1
                                        ; =>  This Inner Loop Header: Depth=2
	s_wait_xcnt 0x0
	s_delay_alu instid0(VALU_DEP_1) | instskip(NEXT) | instid1(VALU_DEP_2)
	v_dual_add_nc_u32 v10, s21, v9 :: v_dual_add_nc_u32 v11, s21, v4
	v_dual_add_nc_u32 v12, s21, v3 :: v_dual_add_nc_u32 v13, s21, v5
	v_dual_add_nc_u32 v3, -1, v3 :: v_dual_add_nc_u32 v4, -1, v4
	s_delay_alu instid0(VALU_DEP_3) | instskip(NEXT) | instid1(VALU_DEP_4)
	v_cndmask_b32_e64 v10, v10, s14, s12
	v_cndmask_b32_e64 v11, v11, 0, s12
	s_delay_alu instid0(VALU_DEP_4)
	v_cmp_gt_i32_e64 s0, s8, v13
	v_cmp_gt_i32_e32 vcc_lo, 0, v12
	v_add_nc_u32_e32 v5, 1, v5
	v_add_nc_u32_e32 v9, 1, v9
	s_add_co_i32 s22, s22, -1
	v_dual_cndmask_b32 v10, v10, v13, s0 :: v_dual_cndmask_b32 v11, v12, v11, vcc_lo
	s_clause 0x1
	global_load_b32 v12, v10, s[4:5] scale_offset
	global_load_b32 v13, v11, s[4:5] scale_offset
	s_wait_loadcnt 0x1
	v_cmp_gt_i32_e32 vcc_lo, v2, v12
	s_wait_loadcnt 0x0
	v_cmp_ge_i32_e64 s0, v2, v13
	s_and_b32 s0, vcc_lo, s0
	s_delay_alu instid0(SALU_CYCLE_1) | instskip(SKIP_2) | instid1(SALU_CYCLE_1)
	s_and_b32 s2, s2, s0
	s_and_not1_b32 s0, s1, exec_lo
	s_and_b32 s1, s2, exec_lo
	s_or_b32 s1, s0, s1
	s_cmp_eq_u32 s22, 0
	s_cbranch_scc0 .LBB0_10
	s_branch .LBB0_2
.LBB0_11:
	s_endpgm
	.section	.rodata,"a",@progbits
	.p2align	6, 0x0
	.amdhsa_kernel _Z13relextrema_1DIiEviibPKT_Pb
		.amdhsa_group_segment_fixed_size 0
		.amdhsa_private_segment_fixed_size 0
		.amdhsa_kernarg_size 288
		.amdhsa_user_sgpr_count 2
		.amdhsa_user_sgpr_dispatch_ptr 0
		.amdhsa_user_sgpr_queue_ptr 0
		.amdhsa_user_sgpr_kernarg_segment_ptr 1
		.amdhsa_user_sgpr_dispatch_id 0
		.amdhsa_user_sgpr_kernarg_preload_length 0
		.amdhsa_user_sgpr_kernarg_preload_offset 0
		.amdhsa_user_sgpr_private_segment_size 0
		.amdhsa_wavefront_size32 1
		.amdhsa_uses_dynamic_stack 0
		.amdhsa_enable_private_segment 0
		.amdhsa_system_sgpr_workgroup_id_x 1
		.amdhsa_system_sgpr_workgroup_id_y 0
		.amdhsa_system_sgpr_workgroup_id_z 0
		.amdhsa_system_sgpr_workgroup_info 0
		.amdhsa_system_vgpr_workitem_id 0
		.amdhsa_next_free_vgpr 17
		.amdhsa_next_free_sgpr 29
		.amdhsa_named_barrier_count 0
		.amdhsa_reserve_vcc 1
		.amdhsa_float_round_mode_32 0
		.amdhsa_float_round_mode_16_64 0
		.amdhsa_float_denorm_mode_32 3
		.amdhsa_float_denorm_mode_16_64 3
		.amdhsa_fp16_overflow 0
		.amdhsa_memory_ordered 1
		.amdhsa_forward_progress 1
		.amdhsa_inst_pref_size 8
		.amdhsa_round_robin_scheduling 0
		.amdhsa_exception_fp_ieee_invalid_op 0
		.amdhsa_exception_fp_denorm_src 0
		.amdhsa_exception_fp_ieee_div_zero 0
		.amdhsa_exception_fp_ieee_overflow 0
		.amdhsa_exception_fp_ieee_underflow 0
		.amdhsa_exception_fp_ieee_inexact 0
		.amdhsa_exception_int_div_zero 0
	.end_amdhsa_kernel
	.section	.text._Z13relextrema_1DIiEviibPKT_Pb,"axG",@progbits,_Z13relextrema_1DIiEviibPKT_Pb,comdat
.Lfunc_end0:
	.size	_Z13relextrema_1DIiEviibPKT_Pb, .Lfunc_end0-_Z13relextrema_1DIiEviibPKT_Pb
                                        ; -- End function
	.set _Z13relextrema_1DIiEviibPKT_Pb.num_vgpr, 17
	.set _Z13relextrema_1DIiEviibPKT_Pb.num_agpr, 0
	.set _Z13relextrema_1DIiEviibPKT_Pb.numbered_sgpr, 29
	.set _Z13relextrema_1DIiEviibPKT_Pb.num_named_barrier, 0
	.set _Z13relextrema_1DIiEviibPKT_Pb.private_seg_size, 0
	.set _Z13relextrema_1DIiEviibPKT_Pb.uses_vcc, 1
	.set _Z13relextrema_1DIiEviibPKT_Pb.uses_flat_scratch, 0
	.set _Z13relextrema_1DIiEviibPKT_Pb.has_dyn_sized_stack, 0
	.set _Z13relextrema_1DIiEviibPKT_Pb.has_recursion, 0
	.set _Z13relextrema_1DIiEviibPKT_Pb.has_indirect_call, 0
	.section	.AMDGPU.csdata,"",@progbits
; Kernel info:
; codeLenInByte = 960
; TotalNumSgprs: 31
; NumVgprs: 17
; ScratchSize: 0
; MemoryBound: 0
; FloatMode: 240
; IeeeMode: 1
; LDSByteSize: 0 bytes/workgroup (compile time only)
; SGPRBlocks: 0
; VGPRBlocks: 1
; NumSGPRsForWavesPerEU: 31
; NumVGPRsForWavesPerEU: 17
; NamedBarCnt: 0
; Occupancy: 16
; WaveLimiterHint : 0
; COMPUTE_PGM_RSRC2:SCRATCH_EN: 0
; COMPUTE_PGM_RSRC2:USER_SGPR: 2
; COMPUTE_PGM_RSRC2:TRAP_HANDLER: 0
; COMPUTE_PGM_RSRC2:TGID_X_EN: 1
; COMPUTE_PGM_RSRC2:TGID_Y_EN: 0
; COMPUTE_PGM_RSRC2:TGID_Z_EN: 0
; COMPUTE_PGM_RSRC2:TIDIG_COMP_CNT: 0
	.section	.text._Z13relextrema_1DIlEviibPKT_Pb,"axG",@progbits,_Z13relextrema_1DIlEviibPKT_Pb,comdat
	.protected	_Z13relextrema_1DIlEviibPKT_Pb ; -- Begin function _Z13relextrema_1DIlEviibPKT_Pb
	.globl	_Z13relextrema_1DIlEviibPKT_Pb
	.p2align	8
	.type	_Z13relextrema_1DIlEviibPKT_Pb,@function
_Z13relextrema_1DIlEviibPKT_Pb:         ; @_Z13relextrema_1DIlEviibPKT_Pb
; %bb.0:
	s_clause 0x1
	s_load_b32 s2, s[0:1], 0x2c
	s_load_b96 s[8:10], s[0:1], 0x0
	s_bfe_u32 s3, ttmp6, 0x4000c
	s_and_b32 s4, ttmp6, 15
	s_add_co_i32 s3, s3, 1
	s_getreg_b32 s5, hwreg(HW_REG_IB_STS2, 6, 4)
	s_mul_i32 s3, ttmp9, s3
	s_delay_alu instid0(SALU_CYCLE_1)
	s_add_co_i32 s4, s4, s3
	s_mov_b32 s3, 0
	s_wait_kmcnt 0x0
	s_and_b32 s11, s2, 0xffff
	s_cmp_eq_u32 s5, 0
	s_cselect_b32 s2, ttmp9, s4
	s_mov_b32 s4, exec_lo
	s_mul_i32 s2, s2, s11
	s_delay_alu instid0(SALU_CYCLE_1) | instskip(NEXT) | instid1(VALU_DEP_1)
	v_add_nc_u32_e32 v2, s2, v0
	v_cmpx_gt_i32_e64 s8, v2
	s_cbranch_execz .LBB1_6
; %bb.1:
	s_add_nc_u64 s[12:13], s[0:1], 32
	v_dual_add_nc_u32 v4, -1, v0 :: v_dual_add_nc_u32 v5, 1, v0
	s_load_b32 s14, s[12:13], 0x0
	s_load_b128 s[4:7], s[0:1], 0x10
	s_bitcmp1_b32 s10, 0
	s_delay_alu instid0(VALU_DEP_1)
	v_add_nc_u32_e32 v6, s8, v4
	v_subrev_nc_u32_e32 v7, s8, v5
	s_wait_xcnt 0x0
	s_cselect_b32 s1, -1, 0
	s_cmp_gt_i32 s9, 0
	s_cselect_b32 s10, -1, 0
	s_add_co_i32 s12, s8, -1
	s_wait_kmcnt 0x0
	s_mul_i32 s11, s14, s11
	s_branch .LBB1_3
.LBB1_2:                                ;   in Loop: Header=BB1_3 Depth=1
	s_wait_xcnt 0x2
	v_add_nc_u64_e32 v[0:1], s[6:7], v[2:3]
	v_dual_add_nc_u32 v2, s11, v2 :: v_dual_add_nc_u32 v4, s11, v4
	v_cndmask_b32_e64 v3, 0, 1, s13
	v_dual_add_nc_u32 v6, s11, v6 :: v_dual_add_nc_u32 v5, s11, v5
	s_delay_alu instid0(VALU_DEP_3)
	v_cmp_le_i32_e32 vcc_lo, s8, v2
	v_add_nc_u32_e32 v7, s11, v7
	global_store_b8 v[0:1], v3, off
	s_or_b32 s3, vcc_lo, s3
	s_wait_xcnt 0x0
	s_and_not1_b32 exec_lo, exec_lo, s3
	s_cbranch_execz .LBB1_6
.LBB1_3:                                ; =>This Loop Header: Depth=1
                                        ;     Child Loop BB1_5 Depth 2
	v_ashrrev_i32_e32 v3, 31, v2
	s_and_not1_b32 vcc_lo, exec_lo, s10
	s_mov_b32 s13, -1
	s_cbranch_vccnz .LBB1_2
; %bb.4:                                ;   in Loop: Header=BB1_3 Depth=1
	s_delay_alu instid0(VALU_DEP_1)
	v_lshl_add_u64 v[0:1], v[2:3], 3, s[4:5]
	v_dual_mov_b32 v8, v7 :: v_dual_mov_b32 v9, v5
	v_dual_mov_b32 v10, v6 :: v_dual_mov_b32 v11, v4
	global_load_b64 v[0:1], v[0:1], off
	s_mov_b32 s14, -1
	s_mov_b32 s15, s9
                                        ; implicit-def: $sgpr13
.LBB1_5:                                ;   Parent Loop BB1_3 Depth=1
                                        ; =>  This Inner Loop Header: Depth=2
	v_dual_add_nc_u32 v12, s2, v8 :: v_dual_add_nc_u32 v13, s2, v10
	v_dual_add_nc_u32 v14, s2, v11 :: v_dual_add_nc_u32 v15, s2, v9
	v_dual_add_nc_u32 v11, -1, v11 :: v_dual_add_nc_u32 v10, -1, v10
	s_delay_alu instid0(VALU_DEP_3) | instskip(NEXT) | instid1(VALU_DEP_4)
	v_cndmask_b32_e64 v12, v12, s12, s1
	v_cndmask_b32_e64 v13, v13, 0, s1
	s_delay_alu instid0(VALU_DEP_4)
	v_cmp_gt_i32_e64 s0, s8, v15
	v_cmp_gt_i32_e32 vcc_lo, 0, v14
	v_dual_add_nc_u32 v9, 1, v9 :: v_dual_add_nc_u32 v8, 1, v8
	s_add_co_i32 s15, s15, -1
	s_wait_xcnt 0x0
	v_dual_cndmask_b32 v16, v12, v15, s0 :: v_dual_cndmask_b32 v17, v14, v13, vcc_lo
	s_clause 0x1
	global_load_b64 v[12:13], v16, s[4:5] scale_offset
	global_load_b64 v[14:15], v17, s[4:5] scale_offset
	s_wait_loadcnt 0x1
	v_cmp_gt_i64_e32 vcc_lo, v[0:1], v[12:13]
	s_wait_loadcnt 0x0
	v_cmp_ge_i64_e64 s0, v[0:1], v[14:15]
	s_and_b32 s0, vcc_lo, s0
	s_delay_alu instid0(SALU_CYCLE_1) | instskip(SKIP_2) | instid1(SALU_CYCLE_1)
	s_and_b32 s14, s14, s0
	s_and_not1_b32 s0, s13, exec_lo
	s_and_b32 s13, s14, exec_lo
	s_or_b32 s13, s0, s13
	s_cmp_eq_u32 s15, 0
	s_cbranch_scc0 .LBB1_5
	s_branch .LBB1_2
.LBB1_6:
	s_endpgm
	.section	.rodata,"a",@progbits
	.p2align	6, 0x0
	.amdhsa_kernel _Z13relextrema_1DIlEviibPKT_Pb
		.amdhsa_group_segment_fixed_size 0
		.amdhsa_private_segment_fixed_size 0
		.amdhsa_kernarg_size 288
		.amdhsa_user_sgpr_count 2
		.amdhsa_user_sgpr_dispatch_ptr 0
		.amdhsa_user_sgpr_queue_ptr 0
		.amdhsa_user_sgpr_kernarg_segment_ptr 1
		.amdhsa_user_sgpr_dispatch_id 0
		.amdhsa_user_sgpr_kernarg_preload_length 0
		.amdhsa_user_sgpr_kernarg_preload_offset 0
		.amdhsa_user_sgpr_private_segment_size 0
		.amdhsa_wavefront_size32 1
		.amdhsa_uses_dynamic_stack 0
		.amdhsa_enable_private_segment 0
		.amdhsa_system_sgpr_workgroup_id_x 1
		.amdhsa_system_sgpr_workgroup_id_y 0
		.amdhsa_system_sgpr_workgroup_id_z 0
		.amdhsa_system_sgpr_workgroup_info 0
		.amdhsa_system_vgpr_workitem_id 0
		.amdhsa_next_free_vgpr 18
		.amdhsa_next_free_sgpr 16
		.amdhsa_named_barrier_count 0
		.amdhsa_reserve_vcc 1
		.amdhsa_float_round_mode_32 0
		.amdhsa_float_round_mode_16_64 0
		.amdhsa_float_denorm_mode_32 3
		.amdhsa_float_denorm_mode_16_64 3
		.amdhsa_fp16_overflow 0
		.amdhsa_memory_ordered 1
		.amdhsa_forward_progress 1
		.amdhsa_inst_pref_size 5
		.amdhsa_round_robin_scheduling 0
		.amdhsa_exception_fp_ieee_invalid_op 0
		.amdhsa_exception_fp_denorm_src 0
		.amdhsa_exception_fp_ieee_div_zero 0
		.amdhsa_exception_fp_ieee_overflow 0
		.amdhsa_exception_fp_ieee_underflow 0
		.amdhsa_exception_fp_ieee_inexact 0
		.amdhsa_exception_int_div_zero 0
	.end_amdhsa_kernel
	.section	.text._Z13relextrema_1DIlEviibPKT_Pb,"axG",@progbits,_Z13relextrema_1DIlEviibPKT_Pb,comdat
.Lfunc_end1:
	.size	_Z13relextrema_1DIlEviibPKT_Pb, .Lfunc_end1-_Z13relextrema_1DIlEviibPKT_Pb
                                        ; -- End function
	.set _Z13relextrema_1DIlEviibPKT_Pb.num_vgpr, 18
	.set _Z13relextrema_1DIlEviibPKT_Pb.num_agpr, 0
	.set _Z13relextrema_1DIlEviibPKT_Pb.numbered_sgpr, 16
	.set _Z13relextrema_1DIlEviibPKT_Pb.num_named_barrier, 0
	.set _Z13relextrema_1DIlEviibPKT_Pb.private_seg_size, 0
	.set _Z13relextrema_1DIlEviibPKT_Pb.uses_vcc, 1
	.set _Z13relextrema_1DIlEviibPKT_Pb.uses_flat_scratch, 0
	.set _Z13relextrema_1DIlEviibPKT_Pb.has_dyn_sized_stack, 0
	.set _Z13relextrema_1DIlEviibPKT_Pb.has_recursion, 0
	.set _Z13relextrema_1DIlEviibPKT_Pb.has_indirect_call, 0
	.section	.AMDGPU.csdata,"",@progbits
; Kernel info:
; codeLenInByte = 520
; TotalNumSgprs: 18
; NumVgprs: 18
; ScratchSize: 0
; MemoryBound: 0
; FloatMode: 240
; IeeeMode: 1
; LDSByteSize: 0 bytes/workgroup (compile time only)
; SGPRBlocks: 0
; VGPRBlocks: 1
; NumSGPRsForWavesPerEU: 18
; NumVGPRsForWavesPerEU: 18
; NamedBarCnt: 0
; Occupancy: 16
; WaveLimiterHint : 0
; COMPUTE_PGM_RSRC2:SCRATCH_EN: 0
; COMPUTE_PGM_RSRC2:USER_SGPR: 2
; COMPUTE_PGM_RSRC2:TRAP_HANDLER: 0
; COMPUTE_PGM_RSRC2:TGID_X_EN: 1
; COMPUTE_PGM_RSRC2:TGID_Y_EN: 0
; COMPUTE_PGM_RSRC2:TGID_Z_EN: 0
; COMPUTE_PGM_RSRC2:TIDIG_COMP_CNT: 0
	.section	.text._Z13relextrema_1DIfEviibPKT_Pb,"axG",@progbits,_Z13relextrema_1DIfEviibPKT_Pb,comdat
	.protected	_Z13relextrema_1DIfEviibPKT_Pb ; -- Begin function _Z13relextrema_1DIfEviibPKT_Pb
	.globl	_Z13relextrema_1DIfEviibPKT_Pb
	.p2align	8
	.type	_Z13relextrema_1DIfEviibPKT_Pb,@function
_Z13relextrema_1DIfEviibPKT_Pb:         ; @_Z13relextrema_1DIfEviibPKT_Pb
; %bb.0:
	s_clause 0x1
	s_load_b32 s2, s[0:1], 0x2c
	s_load_b96 s[8:10], s[0:1], 0x0
	s_bfe_u32 s3, ttmp6, 0x4000c
	s_and_b32 s4, ttmp6, 15
	s_add_co_i32 s3, s3, 1
	s_getreg_b32 s5, hwreg(HW_REG_IB_STS2, 6, 4)
	s_mul_i32 s3, ttmp9, s3
	s_delay_alu instid0(SALU_CYCLE_1)
	s_add_co_i32 s4, s4, s3
	s_mov_b32 s3, 0
	s_wait_kmcnt 0x0
	s_and_b32 s2, s2, 0xffff
	s_cmp_eq_u32 s5, 0
	s_cselect_b32 s12, ttmp9, s4
	s_mov_b32 s4, exec_lo
	s_mul_i32 s12, s12, s2
	s_delay_alu instid0(SALU_CYCLE_1) | instskip(NEXT) | instid1(VALU_DEP_1)
	v_add_nc_u32_e32 v6, s12, v0
	v_cmpx_gt_i32_e64 s8, v6
	s_cbranch_execz .LBB2_11
; %bb.1:
	s_add_nc_u64 s[14:15], s[0:1], 32
	s_load_b128 s[4:7], s[0:1], 0x10
	s_load_b32 s20, s[14:15], 0x0
	s_bitcmp1_b32 s10, 0
	v_add3_u32 v7, s12, s8, v0
	s_cselect_b32 s12, -1, 0
	s_cmp_gt_i32 s9, 0
	v_subrev_nc_u32_e32 v8, s8, v6
	s_cselect_b32 s13, -1, 0
	s_wait_xcnt 0x0
	s_add_co_i32 s14, s8, -1
	s_cmp_lg_u32 s9, 1
	v_mov_b32_e32 v0, v6
	s_cselect_b32 s16, -1, 0
	s_and_b32 s17, s9, 0x7ffffffe
	s_or_b32 s18, s9, 1
	s_cmp_lg_u32 s9, s17
	s_mov_b32 s10, s8
	s_mov_b32 s11, s8
	;; [unrolled: 1-line block ×3, first 2 shown]
	s_cselect_b32 s19, -1, 0
	s_add_co_i32 s9, s9, 1
	s_mov_b32 s21, 0
	s_wait_kmcnt 0x0
	s_mul_i32 s20, s20, s2
                                        ; implicit-def: $sgpr1
	s_branch .LBB2_3
.LBB2_2:                                ;   in Loop: Header=BB2_3 Depth=1
	s_wait_loadcnt 0x0
	s_wait_xcnt 0x0
	v_add_nc_u64_e32 v[2:3], s[6:7], v[0:1]
	v_add_nc_u32_e32 v0, s20, v0
	v_cndmask_b32_e64 v1, 0, 1, s1
	s_add_co_i32 s21, s21, s20
	s_delay_alu instid0(VALU_DEP_2)
	v_cmp_le_i32_e32 vcc_lo, s8, v0
	global_store_b8 v[2:3], v1, off
	s_or_b32 s3, vcc_lo, s3
	s_wait_xcnt 0x0
	s_and_not1_b32 exec_lo, exec_lo, s3
	s_cbranch_execz .LBB2_11
.LBB2_3:                                ; =>This Loop Header: Depth=1
                                        ;     Child Loop BB2_6 Depth 2
                                        ;     Child Loop BB2_10 Depth 2
	v_ashrrev_i32_e32 v1, 31, v0
	s_and_not1_b32 vcc_lo, exec_lo, s13
	s_or_b32 s1, s1, exec_lo
	s_cbranch_vccnz .LBB2_2
; %bb.4:                                ;   in Loop: Header=BB2_3 Depth=1
	s_delay_alu instid0(VALU_DEP_1)
	v_lshl_add_u64 v[2:3], v[0:1], 2, s[4:5]
	s_mov_b32 s0, 1
	s_mov_b32 s2, -1
	s_and_not1_b32 vcc_lo, exec_lo, s16
	s_mov_b32 s22, -1
	global_load_b32 v2, v[2:3], off
                                        ; implicit-def: $sgpr1
	s_cbranch_vccnz .LBB2_8
; %bb.5:                                ;   in Loop: Header=BB2_3 Depth=1
	s_wait_xcnt 0x0
	v_dual_mov_b32 v4, v0 :: v_dual_mov_b32 v3, v0
	s_wait_loadcnt 0x0
	v_mov_b32_e32 v5, v2
	s_mov_b32 s23, 2
	s_mov_b32 s24, 1
	s_mov_b32 s25, -1
	s_mov_b32 s26, s17
                                        ; implicit-def: $sgpr27
                                        ; implicit-def: $sgpr28
.LBB2_6:                                ;   Parent Loop BB2_3 Depth=1
                                        ; =>  This Inner Loop Header: Depth=2
	s_wait_xcnt 0x3
	v_subrev_nc_u32_e32 v11, s23, v3
	s_wait_xcnt 0x1
	v_dual_add_nc_u32 v9, s24, v4 :: v_dual_add_nc_u32 v10, s23, v3
	s_wait_xcnt 0x0
	v_subrev_nc_u32_e32 v12, s24, v4
	s_and_not1_b32 s28, s28, exec_lo
	v_add_nc_u32_e32 v15, s11, v11
	v_subrev_nc_u32_e32 v13, s10, v9
	v_subrev_nc_u32_e32 v14, s11, v10
	v_add_nc_u32_e32 v16, s10, v12
	v_cmp_gt_i32_e64 s2, 0, v11
	v_cndmask_b32_e64 v15, v15, 0, s12
	v_cmp_gt_i32_e64 s0, s11, v10
	v_cndmask_b32_e64 v14, v14, s15, s12
	v_cndmask_b32_e64 v13, v13, s14, s12
	v_cmp_gt_i32_e32 vcc_lo, s10, v9
	v_cndmask_b32_e64 v16, v16, 0, s12
	v_cmp_gt_i32_e64 s1, 0, v12
	v_dual_cndmask_b32 v11, v11, v15, s2 :: v_dual_cndmask_b32 v10, v14, v10, s0
	v_cndmask_b32_e32 v9, v13, v9, vcc_lo
	s_and_not1_b32 s27, s27, exec_lo
	v_cndmask_b32_e64 v12, v12, v16, s1
	s_clause 0x3
	global_load_b32 v13, v11, s[4:5] scale_offset
	global_load_b32 v14, v10, s[4:5] scale_offset
	;; [unrolled: 1-line block ×4, first 2 shown]
	s_add_co_i32 s26, s26, -2
	s_add_co_i32 s24, s24, 2
	s_add_co_i32 s23, s23, 2
	s_wait_loadcnt 0x3
	v_cmp_ge_f32_e64 s2, v5, v13
	s_wait_loadcnt 0x2
	v_cmp_gt_f32_e32 vcc_lo, v5, v14
	s_wait_loadcnt 0x1
	v_cmp_gt_f32_e64 s0, v2, v15
	s_wait_loadcnt 0x0
	v_cmp_ge_f32_e64 s1, v2, v16
	s_and_b32 s0, s0, s1
	s_and_b32 s1, vcc_lo, s2
	s_and_b32 s25, s25, s0
	s_and_b32 s22, s22, s1
	s_and_b32 s0, s25, exec_lo
	s_and_b32 s1, s22, exec_lo
	s_or_b32 s28, s28, s0
	s_or_b32 s27, s27, s1
	s_cmp_lg_u32 s26, 0
	s_cbranch_scc1 .LBB2_6
; %bb.7:                                ;   in Loop: Header=BB2_3 Depth=1
	v_cndmask_b32_e64 v3, 0, 1, s27
	v_cndmask_b32_e64 v4, 0, 1, s28
	s_mov_b32 s0, s18
	s_mov_b32 s22, s19
	s_delay_alu instid0(VALU_DEP_2) | instskip(NEXT) | instid1(VALU_DEP_1)
	v_lshlrev_b16 v3, 1, v3
	v_bitop3_b16 v3, v4, 3, v3 bitop3:0xc8
	s_delay_alu instid0(VALU_DEP_1)
	v_cmp_eq_u16_e64 s2, 3, v3
	s_mov_b32 s1, s2
.LBB2_8:                                ;   in Loop: Header=BB2_3 Depth=1
	s_and_b32 vcc_lo, exec_lo, s22
	s_cbranch_vccz .LBB2_2
; %bb.9:                                ;   in Loop: Header=BB2_3 Depth=1
	s_wait_xcnt 0x0
	v_subrev_nc_u32_e32 v3, s0, v6
	v_subrev_nc_u32_e32 v4, s0, v7
	v_dual_add_nc_u32 v5, s0, v6 :: v_dual_add_nc_u32 v9, s0, v8
	s_sub_co_i32 s22, s9, s0
                                        ; implicit-def: $sgpr1
.LBB2_10:                               ;   Parent Loop BB2_3 Depth=1
                                        ; =>  This Inner Loop Header: Depth=2
	s_wait_xcnt 0x0
	s_delay_alu instid0(VALU_DEP_1) | instskip(NEXT) | instid1(VALU_DEP_2)
	v_dual_add_nc_u32 v10, s21, v9 :: v_dual_add_nc_u32 v11, s21, v4
	v_dual_add_nc_u32 v12, s21, v3 :: v_dual_add_nc_u32 v13, s21, v5
	v_dual_add_nc_u32 v3, -1, v3 :: v_dual_add_nc_u32 v4, -1, v4
	s_delay_alu instid0(VALU_DEP_3) | instskip(NEXT) | instid1(VALU_DEP_4)
	v_cndmask_b32_e64 v10, v10, s14, s12
	v_cndmask_b32_e64 v11, v11, 0, s12
	s_delay_alu instid0(VALU_DEP_4)
	v_cmp_gt_i32_e64 s0, s8, v13
	v_cmp_gt_i32_e32 vcc_lo, 0, v12
	v_add_nc_u32_e32 v5, 1, v5
	v_add_nc_u32_e32 v9, 1, v9
	s_add_co_i32 s22, s22, -1
	v_dual_cndmask_b32 v10, v10, v13, s0 :: v_dual_cndmask_b32 v11, v12, v11, vcc_lo
	s_clause 0x1
	global_load_b32 v12, v10, s[4:5] scale_offset
	global_load_b32 v13, v11, s[4:5] scale_offset
	s_wait_loadcnt 0x1
	v_cmp_gt_f32_e32 vcc_lo, v2, v12
	s_wait_loadcnt 0x0
	v_cmp_ge_f32_e64 s0, v2, v13
	s_and_b32 s0, vcc_lo, s0
	s_delay_alu instid0(SALU_CYCLE_1) | instskip(SKIP_2) | instid1(SALU_CYCLE_1)
	s_and_b32 s2, s2, s0
	s_and_not1_b32 s0, s1, exec_lo
	s_and_b32 s1, s2, exec_lo
	s_or_b32 s1, s0, s1
	s_cmp_eq_u32 s22, 0
	s_cbranch_scc0 .LBB2_10
	s_branch .LBB2_2
.LBB2_11:
	s_endpgm
	.section	.rodata,"a",@progbits
	.p2align	6, 0x0
	.amdhsa_kernel _Z13relextrema_1DIfEviibPKT_Pb
		.amdhsa_group_segment_fixed_size 0
		.amdhsa_private_segment_fixed_size 0
		.amdhsa_kernarg_size 288
		.amdhsa_user_sgpr_count 2
		.amdhsa_user_sgpr_dispatch_ptr 0
		.amdhsa_user_sgpr_queue_ptr 0
		.amdhsa_user_sgpr_kernarg_segment_ptr 1
		.amdhsa_user_sgpr_dispatch_id 0
		.amdhsa_user_sgpr_kernarg_preload_length 0
		.amdhsa_user_sgpr_kernarg_preload_offset 0
		.amdhsa_user_sgpr_private_segment_size 0
		.amdhsa_wavefront_size32 1
		.amdhsa_uses_dynamic_stack 0
		.amdhsa_enable_private_segment 0
		.amdhsa_system_sgpr_workgroup_id_x 1
		.amdhsa_system_sgpr_workgroup_id_y 0
		.amdhsa_system_sgpr_workgroup_id_z 0
		.amdhsa_system_sgpr_workgroup_info 0
		.amdhsa_system_vgpr_workitem_id 0
		.amdhsa_next_free_vgpr 17
		.amdhsa_next_free_sgpr 29
		.amdhsa_named_barrier_count 0
		.amdhsa_reserve_vcc 1
		.amdhsa_float_round_mode_32 0
		.amdhsa_float_round_mode_16_64 0
		.amdhsa_float_denorm_mode_32 3
		.amdhsa_float_denorm_mode_16_64 3
		.amdhsa_fp16_overflow 0
		.amdhsa_memory_ordered 1
		.amdhsa_forward_progress 1
		.amdhsa_inst_pref_size 8
		.amdhsa_round_robin_scheduling 0
		.amdhsa_exception_fp_ieee_invalid_op 0
		.amdhsa_exception_fp_denorm_src 0
		.amdhsa_exception_fp_ieee_div_zero 0
		.amdhsa_exception_fp_ieee_overflow 0
		.amdhsa_exception_fp_ieee_underflow 0
		.amdhsa_exception_fp_ieee_inexact 0
		.amdhsa_exception_int_div_zero 0
	.end_amdhsa_kernel
	.section	.text._Z13relextrema_1DIfEviibPKT_Pb,"axG",@progbits,_Z13relextrema_1DIfEviibPKT_Pb,comdat
.Lfunc_end2:
	.size	_Z13relextrema_1DIfEviibPKT_Pb, .Lfunc_end2-_Z13relextrema_1DIfEviibPKT_Pb
                                        ; -- End function
	.set _Z13relextrema_1DIfEviibPKT_Pb.num_vgpr, 17
	.set _Z13relextrema_1DIfEviibPKT_Pb.num_agpr, 0
	.set _Z13relextrema_1DIfEviibPKT_Pb.numbered_sgpr, 29
	.set _Z13relextrema_1DIfEviibPKT_Pb.num_named_barrier, 0
	.set _Z13relextrema_1DIfEviibPKT_Pb.private_seg_size, 0
	.set _Z13relextrema_1DIfEviibPKT_Pb.uses_vcc, 1
	.set _Z13relextrema_1DIfEviibPKT_Pb.uses_flat_scratch, 0
	.set _Z13relextrema_1DIfEviibPKT_Pb.has_dyn_sized_stack, 0
	.set _Z13relextrema_1DIfEviibPKT_Pb.has_recursion, 0
	.set _Z13relextrema_1DIfEviibPKT_Pb.has_indirect_call, 0
	.section	.AMDGPU.csdata,"",@progbits
; Kernel info:
; codeLenInByte = 960
; TotalNumSgprs: 31
; NumVgprs: 17
; ScratchSize: 0
; MemoryBound: 0
; FloatMode: 240
; IeeeMode: 1
; LDSByteSize: 0 bytes/workgroup (compile time only)
; SGPRBlocks: 0
; VGPRBlocks: 1
; NumSGPRsForWavesPerEU: 31
; NumVGPRsForWavesPerEU: 17
; NamedBarCnt: 0
; Occupancy: 16
; WaveLimiterHint : 0
; COMPUTE_PGM_RSRC2:SCRATCH_EN: 0
; COMPUTE_PGM_RSRC2:USER_SGPR: 2
; COMPUTE_PGM_RSRC2:TRAP_HANDLER: 0
; COMPUTE_PGM_RSRC2:TGID_X_EN: 1
; COMPUTE_PGM_RSRC2:TGID_Y_EN: 0
; COMPUTE_PGM_RSRC2:TGID_Z_EN: 0
; COMPUTE_PGM_RSRC2:TIDIG_COMP_CNT: 0
	.section	.text._Z13relextrema_1DIdEviibPKT_Pb,"axG",@progbits,_Z13relextrema_1DIdEviibPKT_Pb,comdat
	.protected	_Z13relextrema_1DIdEviibPKT_Pb ; -- Begin function _Z13relextrema_1DIdEviibPKT_Pb
	.globl	_Z13relextrema_1DIdEviibPKT_Pb
	.p2align	8
	.type	_Z13relextrema_1DIdEviibPKT_Pb,@function
_Z13relextrema_1DIdEviibPKT_Pb:         ; @_Z13relextrema_1DIdEviibPKT_Pb
; %bb.0:
	s_clause 0x1
	s_load_b32 s2, s[0:1], 0x2c
	s_load_b96 s[8:10], s[0:1], 0x0
	s_bfe_u32 s3, ttmp6, 0x4000c
	s_and_b32 s4, ttmp6, 15
	s_add_co_i32 s3, s3, 1
	s_getreg_b32 s5, hwreg(HW_REG_IB_STS2, 6, 4)
	s_mul_i32 s3, ttmp9, s3
	s_delay_alu instid0(SALU_CYCLE_1)
	s_add_co_i32 s4, s4, s3
	s_mov_b32 s3, 0
	s_wait_kmcnt 0x0
	s_and_b32 s11, s2, 0xffff
	s_cmp_eq_u32 s5, 0
	s_cselect_b32 s2, ttmp9, s4
	s_mov_b32 s4, exec_lo
	s_mul_i32 s2, s2, s11
	s_delay_alu instid0(SALU_CYCLE_1) | instskip(NEXT) | instid1(VALU_DEP_1)
	v_add_nc_u32_e32 v2, s2, v0
	v_cmpx_gt_i32_e64 s8, v2
	s_cbranch_execz .LBB3_6
; %bb.1:
	s_add_nc_u64 s[12:13], s[0:1], 32
	v_dual_add_nc_u32 v4, -1, v0 :: v_dual_add_nc_u32 v5, 1, v0
	s_load_b32 s14, s[12:13], 0x0
	s_load_b128 s[4:7], s[0:1], 0x10
	s_bitcmp1_b32 s10, 0
	s_delay_alu instid0(VALU_DEP_1)
	v_add_nc_u32_e32 v6, s8, v4
	v_subrev_nc_u32_e32 v7, s8, v5
	s_wait_xcnt 0x0
	s_cselect_b32 s1, -1, 0
	s_cmp_gt_i32 s9, 0
	s_cselect_b32 s10, -1, 0
	s_add_co_i32 s12, s8, -1
	s_wait_kmcnt 0x0
	s_mul_i32 s11, s14, s11
	s_branch .LBB3_3
.LBB3_2:                                ;   in Loop: Header=BB3_3 Depth=1
	s_wait_xcnt 0x2
	v_add_nc_u64_e32 v[0:1], s[6:7], v[2:3]
	v_dual_add_nc_u32 v2, s11, v2 :: v_dual_add_nc_u32 v4, s11, v4
	v_cndmask_b32_e64 v3, 0, 1, s13
	v_dual_add_nc_u32 v6, s11, v6 :: v_dual_add_nc_u32 v5, s11, v5
	s_delay_alu instid0(VALU_DEP_3)
	v_cmp_le_i32_e32 vcc_lo, s8, v2
	v_add_nc_u32_e32 v7, s11, v7
	global_store_b8 v[0:1], v3, off
	s_or_b32 s3, vcc_lo, s3
	s_wait_xcnt 0x0
	s_and_not1_b32 exec_lo, exec_lo, s3
	s_cbranch_execz .LBB3_6
.LBB3_3:                                ; =>This Loop Header: Depth=1
                                        ;     Child Loop BB3_5 Depth 2
	v_ashrrev_i32_e32 v3, 31, v2
	s_and_not1_b32 vcc_lo, exec_lo, s10
	s_mov_b32 s13, -1
	s_cbranch_vccnz .LBB3_2
; %bb.4:                                ;   in Loop: Header=BB3_3 Depth=1
	s_delay_alu instid0(VALU_DEP_1)
	v_lshl_add_u64 v[0:1], v[2:3], 3, s[4:5]
	v_dual_mov_b32 v8, v7 :: v_dual_mov_b32 v9, v5
	v_dual_mov_b32 v10, v6 :: v_dual_mov_b32 v11, v4
	global_load_b64 v[0:1], v[0:1], off
	s_mov_b32 s14, -1
	s_mov_b32 s15, s9
                                        ; implicit-def: $sgpr13
.LBB3_5:                                ;   Parent Loop BB3_3 Depth=1
                                        ; =>  This Inner Loop Header: Depth=2
	v_dual_add_nc_u32 v12, s2, v8 :: v_dual_add_nc_u32 v13, s2, v10
	v_dual_add_nc_u32 v14, s2, v11 :: v_dual_add_nc_u32 v15, s2, v9
	v_dual_add_nc_u32 v11, -1, v11 :: v_dual_add_nc_u32 v10, -1, v10
	s_delay_alu instid0(VALU_DEP_3) | instskip(NEXT) | instid1(VALU_DEP_4)
	v_cndmask_b32_e64 v12, v12, s12, s1
	v_cndmask_b32_e64 v13, v13, 0, s1
	s_delay_alu instid0(VALU_DEP_4)
	v_cmp_gt_i32_e64 s0, s8, v15
	v_cmp_gt_i32_e32 vcc_lo, 0, v14
	v_dual_add_nc_u32 v9, 1, v9 :: v_dual_add_nc_u32 v8, 1, v8
	s_add_co_i32 s15, s15, -1
	s_wait_xcnt 0x0
	v_dual_cndmask_b32 v16, v12, v15, s0 :: v_dual_cndmask_b32 v17, v14, v13, vcc_lo
	s_clause 0x1
	global_load_b64 v[12:13], v16, s[4:5] scale_offset
	global_load_b64 v[14:15], v17, s[4:5] scale_offset
	s_wait_loadcnt 0x1
	v_cmp_gt_f64_e32 vcc_lo, v[0:1], v[12:13]
	s_wait_loadcnt 0x0
	v_cmp_ge_f64_e64 s0, v[0:1], v[14:15]
	s_and_b32 s0, vcc_lo, s0
	s_delay_alu instid0(SALU_CYCLE_1) | instskip(SKIP_2) | instid1(SALU_CYCLE_1)
	s_and_b32 s14, s14, s0
	s_and_not1_b32 s0, s13, exec_lo
	s_and_b32 s13, s14, exec_lo
	s_or_b32 s13, s0, s13
	s_cmp_eq_u32 s15, 0
	s_cbranch_scc0 .LBB3_5
	s_branch .LBB3_2
.LBB3_6:
	s_endpgm
	.section	.rodata,"a",@progbits
	.p2align	6, 0x0
	.amdhsa_kernel _Z13relextrema_1DIdEviibPKT_Pb
		.amdhsa_group_segment_fixed_size 0
		.amdhsa_private_segment_fixed_size 0
		.amdhsa_kernarg_size 288
		.amdhsa_user_sgpr_count 2
		.amdhsa_user_sgpr_dispatch_ptr 0
		.amdhsa_user_sgpr_queue_ptr 0
		.amdhsa_user_sgpr_kernarg_segment_ptr 1
		.amdhsa_user_sgpr_dispatch_id 0
		.amdhsa_user_sgpr_kernarg_preload_length 0
		.amdhsa_user_sgpr_kernarg_preload_offset 0
		.amdhsa_user_sgpr_private_segment_size 0
		.amdhsa_wavefront_size32 1
		.amdhsa_uses_dynamic_stack 0
		.amdhsa_enable_private_segment 0
		.amdhsa_system_sgpr_workgroup_id_x 1
		.amdhsa_system_sgpr_workgroup_id_y 0
		.amdhsa_system_sgpr_workgroup_id_z 0
		.amdhsa_system_sgpr_workgroup_info 0
		.amdhsa_system_vgpr_workitem_id 0
		.amdhsa_next_free_vgpr 18
		.amdhsa_next_free_sgpr 16
		.amdhsa_named_barrier_count 0
		.amdhsa_reserve_vcc 1
		.amdhsa_float_round_mode_32 0
		.amdhsa_float_round_mode_16_64 0
		.amdhsa_float_denorm_mode_32 3
		.amdhsa_float_denorm_mode_16_64 3
		.amdhsa_fp16_overflow 0
		.amdhsa_memory_ordered 1
		.amdhsa_forward_progress 1
		.amdhsa_inst_pref_size 5
		.amdhsa_round_robin_scheduling 0
		.amdhsa_exception_fp_ieee_invalid_op 0
		.amdhsa_exception_fp_denorm_src 0
		.amdhsa_exception_fp_ieee_div_zero 0
		.amdhsa_exception_fp_ieee_overflow 0
		.amdhsa_exception_fp_ieee_underflow 0
		.amdhsa_exception_fp_ieee_inexact 0
		.amdhsa_exception_int_div_zero 0
	.end_amdhsa_kernel
	.section	.text._Z13relextrema_1DIdEviibPKT_Pb,"axG",@progbits,_Z13relextrema_1DIdEviibPKT_Pb,comdat
.Lfunc_end3:
	.size	_Z13relextrema_1DIdEviibPKT_Pb, .Lfunc_end3-_Z13relextrema_1DIdEviibPKT_Pb
                                        ; -- End function
	.set _Z13relextrema_1DIdEviibPKT_Pb.num_vgpr, 18
	.set _Z13relextrema_1DIdEviibPKT_Pb.num_agpr, 0
	.set _Z13relextrema_1DIdEviibPKT_Pb.numbered_sgpr, 16
	.set _Z13relextrema_1DIdEviibPKT_Pb.num_named_barrier, 0
	.set _Z13relextrema_1DIdEviibPKT_Pb.private_seg_size, 0
	.set _Z13relextrema_1DIdEviibPKT_Pb.uses_vcc, 1
	.set _Z13relextrema_1DIdEviibPKT_Pb.uses_flat_scratch, 0
	.set _Z13relextrema_1DIdEviibPKT_Pb.has_dyn_sized_stack, 0
	.set _Z13relextrema_1DIdEviibPKT_Pb.has_recursion, 0
	.set _Z13relextrema_1DIdEviibPKT_Pb.has_indirect_call, 0
	.section	.AMDGPU.csdata,"",@progbits
; Kernel info:
; codeLenInByte = 520
; TotalNumSgprs: 18
; NumVgprs: 18
; ScratchSize: 0
; MemoryBound: 0
; FloatMode: 240
; IeeeMode: 1
; LDSByteSize: 0 bytes/workgroup (compile time only)
; SGPRBlocks: 0
; VGPRBlocks: 1
; NumSGPRsForWavesPerEU: 18
; NumVGPRsForWavesPerEU: 18
; NamedBarCnt: 0
; Occupancy: 16
; WaveLimiterHint : 0
; COMPUTE_PGM_RSRC2:SCRATCH_EN: 0
; COMPUTE_PGM_RSRC2:USER_SGPR: 2
; COMPUTE_PGM_RSRC2:TRAP_HANDLER: 0
; COMPUTE_PGM_RSRC2:TGID_X_EN: 1
; COMPUTE_PGM_RSRC2:TGID_Y_EN: 0
; COMPUTE_PGM_RSRC2:TGID_Z_EN: 0
; COMPUTE_PGM_RSRC2:TIDIG_COMP_CNT: 0
	.section	.text._Z13relextrema_2DIiEviiibiPKT_Pb,"axG",@progbits,_Z13relextrema_2DIiEviiibiPKT_Pb,comdat
	.protected	_Z13relextrema_2DIiEviiibiPKT_Pb ; -- Begin function _Z13relextrema_2DIiEviiibiPKT_Pb
	.globl	_Z13relextrema_2DIiEviiibiPKT_Pb
	.p2align	8
	.type	_Z13relextrema_2DIiEviiibiPKT_Pb,@function
_Z13relextrema_2DIiEviiibiPKT_Pb:       ; @_Z13relextrema_2DIiEviiibiPKT_Pb
; %bb.0:
	s_clause 0x1
	s_load_b32 s2, s[0:1], 0x34
	s_load_b128 s[16:19], s[0:1], 0x0
	s_bfe_u32 s4, ttmp6, 0x4000c
	s_bfe_u32 s5, ttmp6, 0x40010
	s_add_co_i32 s4, s4, 1
	s_add_co_i32 s5, s5, 1
	s_and_b32 s3, ttmp6, 15
	s_bfe_u32 s6, ttmp6, 0x40004
	s_mul_i32 s4, ttmp9, s4
	s_mul_i32 s5, ttmp7, s5
	s_getreg_b32 s7, hwreg(HW_REG_IB_STS2, 6, 4)
	s_add_co_i32 s3, s3, s4
	s_add_co_i32 s6, s6, s5
	v_and_b32_e32 v10, 0x3ff, v0
	v_bfe_u32 v11, v0, 10, 10
	s_wait_kmcnt 0x0
	s_lshr_b32 s4, s2, 16
	s_and_b32 s2, s2, 0xffff
	s_cmp_eq_u32 s7, 0
	s_cselect_b32 s27, ttmp7, s6
	s_cselect_b32 s28, ttmp9, s3
	s_mul_i32 s27, s27, s4
	s_mul_i32 s28, s28, s2
	s_delay_alu instid0(SALU_CYCLE_1) | instskip(NEXT) | instid1(VALU_DEP_1)
	v_dual_add_nc_u32 v0, s27, v11 :: v_dual_add_nc_u32 v2, s28, v10
	v_cmp_gt_i32_e32 vcc_lo, s17, v0
	s_delay_alu instid0(VALU_DEP_2) | instskip(SKIP_1) | instid1(SALU_CYCLE_1)
	v_cmp_gt_i32_e64 s2, s16, v2
	s_and_b32 s2, vcc_lo, s2
	s_and_saveexec_b32 s3, s2
	s_cbranch_execz .LBB4_14
; %bb.1:
	v_mul_lo_u32 v6, v0, s16
	s_clause 0x1
	s_load_b32 s3, s[0:1], 0x10
	s_load_b64 s[20:21], s[0:1], 0x20
	s_cmp_lt_i32 s18, 1
	s_mov_b32 s2, -1
	s_delay_alu instid0(VALU_DEP_1) | instskip(NEXT) | instid1(VALU_DEP_1)
	v_add_nc_u32_e32 v4, v6, v2
	v_ashrrev_i32_e32 v5, 31, v4
	s_cbranch_scc1 .LBB4_13
; %bb.2:
	s_load_b64 s[22:23], s[0:1], 0x18
	s_bitcmp1_b32 s19, 0
	s_mov_b32 s30, 2
	s_cselect_b32 s19, -1, 0
	s_wait_kmcnt 0x0
	s_cmp_eq_u32 s3, 0
	s_cselect_b32 vcc_lo, -1, 0
	s_cmp_lg_u32 s3, 0
	s_cselect_b32 s24, -1, 0
	s_add_co_i32 s25, s16, -1
	s_add_co_i32 s26, s17, -1
	s_cmp_lt_u32 s18, 4
	v_lshl_add_u64 v[8:9], v[4:5], 2, s[22:23]
	global_load_b32 v8, v[8:9], off
	s_cbranch_scc1 .LBB4_6
; %bb.3:
	v_dual_mov_b32 v1, v2 :: v_dual_mov_b32 v3, v6
	s_wait_loadcnt 0x0
	v_dual_mov_b32 v7, v0 :: v_dual_mov_b32 v9, v8
	s_and_b32 s29, s18, 0x7ffffffc
	s_mov_b32 s31, s25
	s_mov_b32 s33, s26
	s_mov_b32 s34, s16
	s_mov_b32 s35, s16
	s_mov_b32 s36, s17
	s_mov_b32 s37, s17
	s_mov_b32 s38, -1
	s_mov_b32 s39, 1
	s_mov_b32 s40, -1
	s_mov_b32 s41, -1
	;; [unrolled: 1-line block ×3, first 2 shown]
	s_mov_b32 s43, s29
                                        ; implicit-def: $sgpr44
                                        ; implicit-def: $sgpr45
                                        ; implicit-def: $sgpr47
                                        ; implicit-def: $sgpr46
.LBB4_4:                                ; =>This Inner Loop Header: Depth=1
	s_add_co_i32 s1, s30, 2
	v_dual_add_nc_u32 v16, s30, v7 :: v_dual_add_nc_u32 v17, s39, v0
	v_subrev_nc_u32_e32 v18, s30, v7
	v_subrev_nc_u32_e32 v19, s39, v0
	s_add_co_i32 s0, s39, 2
	s_delay_alu instid0(SALU_CYCLE_1)
	v_dual_add_nc_u32 v24, s1, v7 :: v_dual_add_nc_u32 v25, s0, v0
	v_subrev_nc_u32_e32 v26, s1, v7
	v_subrev_nc_u32_e32 v27, s0, v0
	;; [unrolled: 1-line block ×4, first 2 shown]
	v_dual_add_nc_u32 v12, s30, v1 :: v_dual_add_nc_u32 v13, s39, v2
	v_dual_add_nc_u32 v34, s37, v18 :: v_dual_add_nc_u32 v35, s36, v19
	v_subrev_nc_u32_e32 v14, s30, v1
	v_subrev_nc_u32_e32 v15, s39, v2
	;; [unrolled: 1-line block ×3, first 2 shown]
	v_dual_add_nc_u32 v42, s37, v26 :: v_dual_add_nc_u32 v43, s36, v27
	v_dual_add_nc_u32 v20, s1, v1 :: v_dual_add_nc_u32 v21, s0, v2
	v_subrev_nc_u32_e32 v22, s1, v1
	v_subrev_nc_u32_e32 v23, s0, v2
	;; [unrolled: 1-line block ×3, first 2 shown]
	v_cndmask_b32_e64 v33, v33, s26, s19
	v_cmp_gt_i32_e64 s4, s36, v17
	v_cndmask_b32_e64 v32, v32, s33, s19
	v_cmp_gt_i32_e64 s5, s37, v16
	v_subrev_nc_u32_e32 v28, s35, v12
	v_subrev_nc_u32_e32 v29, s34, v13
	v_cndmask_b32_e64 v35, v35, 0, s19
	v_cmp_gt_i32_e64 s6, 0, v19
	v_cndmask_b32_e64 v34, v34, 0, s19
	v_cmp_gt_i32_e64 s7, 0, v18
	v_dual_add_nc_u32 v30, s35, v14 :: v_dual_add_nc_u32 v31, s34, v15
	v_cndmask_b32_e64 v40, v40, s33, s19
	v_cmp_gt_i32_e64 s13, s37, v24
	v_cndmask_b32_e64 v42, v42, 0, s19
	v_cmp_gt_i32_e64 s15, 0, v26
	v_subrev_nc_u32_e32 v36, s35, v20
	v_subrev_nc_u32_e32 v37, s34, v21
	v_dual_add_nc_u32 v38, s35, v22 :: v_dual_add_nc_u32 v39, s34, v23
	v_cndmask_b32_e64 v41, v41, s26, s19
	v_cmp_gt_i32_e64 s12, s36, v25
	v_cndmask_b32_e64 v43, v43, 0, s19
	v_cmp_gt_i32_e64 s14, 0, v27
	v_dual_cndmask_b32 v16, v32, v16, s5 :: v_dual_cndmask_b32 v17, v33, v17, s4
	v_cndmask_b32_e64 v29, v29, s25, s19
	v_cmp_gt_i32_e64 s0, s34, v13
	v_cndmask_b32_e64 v28, v28, s31, s19
	v_cmp_gt_i32_e64 s1, s35, v12
	v_dual_cndmask_b32 v18, v18, v34, s7 :: v_dual_cndmask_b32 v19, v19, v35, s6
	;; [unrolled: 5-line block ×3, first 2 shown]
	v_dual_cndmask_b32 v26, v26, v42, s15 :: v_dual_cndmask_b32 v27, v27, v43, s14
	v_cndmask_b32_e64 v37, v37, s25, s19
	v_cmp_gt_i32_e64 s8, s34, v21
	v_cndmask_b32_e64 v36, v36, s31, s19
	v_cmp_gt_i32_e64 s9, s35, v20
	;; [unrolled: 2-line block ×4, first 2 shown]
	v_mad_u32 v17, v17, s34, v2
	v_mad_u32 v16, v16, s35, v1
	v_dual_cndmask_b32 v12, v28, v12, s1 :: v_dual_cndmask_b32 v13, v29, v13, s0
	v_mad_u32 v19, v19, s34, v2
	v_mad_u32 v18, v18, s35, v1
	v_dual_cndmask_b32 v14, v14, v30, s3 :: v_dual_cndmask_b32 v15, v15, v31, s2
	;; [unrolled: 3-line block ×3, first 2 shown]
	v_dual_cndmask_b32 v22, v22, v38, s11 :: v_dual_cndmask_b32 v23, v23, v39, s10
	v_mad_u32 v25, v25, s34, v2
	v_mad_u32 v27, v27, s34, v2
	v_dual_add_nc_u32 v13, v13, v6 :: v_dual_add_nc_u32 v12, v12, v3
	v_dual_add_nc_u32 v15, v15, v6 :: v_dual_add_nc_u32 v14, v14, v3
	;; [unrolled: 1-line block ×4, first 2 shown]
	s_delay_alu instid0(VALU_DEP_4) | instskip(NEXT) | instid1(VALU_DEP_4)
	v_dual_cndmask_b32 v12, v12, v16 :: v_dual_cndmask_b32 v13, v13, v17
	v_dual_cndmask_b32 v14, v14, v18 :: v_dual_cndmask_b32 v15, v15, v19
	s_delay_alu instid0(VALU_DEP_3) | instskip(NEXT) | instid1(VALU_DEP_4)
	v_dual_cndmask_b32 v16, v20, v24 :: v_dual_cndmask_b32 v17, v22, v26
	v_dual_cndmask_b32 v18, v21, v25 :: v_dual_cndmask_b32 v19, v23, v27
	s_clause 0x7
	global_load_b32 v20, v13, s[22:23] scale_offset
	global_load_b32 v21, v15, s[22:23] scale_offset
	;; [unrolled: 1-line block ×8, first 2 shown]
	s_and_not1_b32 s8, s46, exec_lo
	s_and_not1_b32 s9, s47, exec_lo
	;; [unrolled: 1-line block ×4, first 2 shown]
	s_add_co_i32 s43, s43, -4
	s_add_co_i32 s39, s39, 4
	s_add_co_i32 s30, s30, 4
	s_wait_loadcnt 0x7
	v_cmp_gt_i32_e64 s0, v8, v20
	s_wait_loadcnt 0x6
	v_cmp_ge_i32_e64 s1, v8, v21
	s_wait_loadcnt 0x5
	v_cmp_ge_i32_e64 s7, v9, v22
	;; [unrolled: 2-line block ×3, first 2 shown]
	s_wait_loadcnt 0x3
	v_cmp_gt_i32_e64 s3, v9, v24
	s_wait_loadcnt 0x2
	v_cmp_gt_i32_e64 s2, v9, v25
	;; [unrolled: 2-line block ×3, first 2 shown]
	s_wait_loadcnt 0x0
	v_cmp_ge_i32_e64 s6, v8, v27
	s_and_b32 s0, s0, s1
	s_and_b32 s3, s3, s7
	s_and_b32 s1, s2, s5
	s_and_b32 s42, s42, s0
	s_and_b32 s2, s4, s6
	s_and_b32 s41, s41, s1
	s_and_b32 s38, s38, s3
	s_and_b32 s0, s42, exec_lo
	s_and_b32 s40, s40, s2
	s_or_b32 s46, s8, s0
	s_and_b32 s0, s41, exec_lo
	s_and_b32 s1, s40, exec_lo
	;; [unrolled: 1-line block ×3, first 2 shown]
	s_or_b32 s47, s9, s0
	s_or_b32 s45, s10, s1
	;; [unrolled: 1-line block ×3, first 2 shown]
	s_cmp_lg_u32 s43, 0
	s_cbranch_scc1 .LBB4_4
; %bb.5:
	s_and_b32 s0, s44, s47
	s_delay_alu instid0(SALU_CYCLE_1) | instskip(SKIP_1) | instid1(SALU_CYCLE_1)
	v_cndmask_b32_e64 v1, 0, 1, s0
	s_and_b32 s0, s45, s46
	v_cndmask_b32_e64 v3, 0, 1, s0
	s_or_b32 s0, s29, 1
	s_delay_alu instid0(VALU_DEP_2) | instskip(SKIP_2) | instid1(VALU_DEP_1)
	v_lshlrev_b16 v1, 1, v1
	s_cmp_lg_u32 s18, s29
	s_cselect_b32 s1, -1, 0
	v_bitop3_b16 v1, v3, 3, v1 bitop3:0xc8
	s_delay_alu instid0(VALU_DEP_1)
	v_cmp_eq_u16_e64 s2, 3, v1
	s_and_b32 vcc_lo, exec_lo, s1
	s_cbranch_vccnz .LBB4_7
	s_branch .LBB4_13
.LBB4_6:
	s_mov_b32 s0, 1
	s_cbranch_execz .LBB4_13
.LBB4_7:
	v_add3_u32 v1, s28, s16, v10
	v_add3_u32 v3, s28, s0, v10
	;; [unrolled: 1-line block ×3, first 2 shown]
	s_wait_xcnt 0x0
	v_add3_u32 v9, s27, s0, v11
	v_mov_b32_e32 v10, v2
	s_sub_co_i32 s1, 0, s0
	s_not_b32 s3, s18
	s_sub_co_i32 s4, 0, s16
	s_sub_co_i32 s5, 0, s17
	s_branch .LBB4_9
.LBB4_8:                                ;   in Loop: Header=BB4_9 Depth=1
	s_clause 0x1
	global_load_b32 v13, v11, s[22:23] scale_offset
	global_load_b32 v14, v12, s[22:23] scale_offset
	v_dual_add_nc_u32 v10, -1, v10 :: v_dual_add_nc_u32 v1, -1, v1
	v_dual_add_nc_u32 v3, 1, v3 :: v_dual_add_nc_u32 v0, -1, v0
	v_dual_add_nc_u32 v7, -1, v7 :: v_dual_add_nc_u32 v9, 1, v9
	s_add_co_i32 s3, s3, 1
	s_wait_loadcnt 0x1
	v_cmp_gt_i32_e32 vcc_lo, v8, v13
	s_wait_loadcnt 0x0
	v_cmp_ge_i32_e64 s0, v8, v14
	s_and_b32 s0, vcc_lo, s0
	s_delay_alu instid0(SALU_CYCLE_1)
	s_and_b32 s2, s2, s0
	s_cmp_eq_u32 s1, s3
	s_cbranch_scc1 .LBB4_13
.LBB4_9:                                ; =>This Inner Loop Header: Depth=1
	s_and_b32 vcc_lo, exec_lo, s24
	s_mov_b32 s0, -1
                                        ; implicit-def: $vgpr12
                                        ; implicit-def: $vgpr11
	s_cbranch_vccz .LBB4_11
; %bb.10:                               ;   in Loop: Header=BB4_9 Depth=1
	v_dual_add_nc_u32 v11, s4, v3 :: v_dual_add_nc_u32 v12, s1, v1
	v_cmp_gt_i32_e32 vcc_lo, s16, v3
	s_mov_b32 s0, 0
	s_delay_alu instid0(VALU_DEP_2) | instskip(SKIP_2) | instid1(VALU_DEP_3)
	v_cndmask_b32_e64 v11, v11, s25, s19
	v_add_nc_u32_e32 v13, s1, v10
	v_cndmask_b32_e64 v12, v12, 0, s19
	v_cndmask_b32_e32 v11, v11, v3, vcc_lo
	s_delay_alu instid0(VALU_DEP_3) | instskip(NEXT) | instid1(VALU_DEP_2)
	v_cmp_gt_i32_e32 vcc_lo, 0, v13
	v_dual_cndmask_b32 v12, v13, v12 :: v_dual_add_nc_u32 v11, v11, v6
	s_delay_alu instid0(VALU_DEP_1)
	v_add_nc_u32_e32 v12, v12, v6
.LBB4_11:                               ;   in Loop: Header=BB4_9 Depth=1
	s_and_not1_b32 vcc_lo, exec_lo, s0
	s_cbranch_vccnz .LBB4_8
; %bb.12:                               ;   in Loop: Header=BB4_9 Depth=1
	v_dual_add_nc_u32 v11, s5, v9 :: v_dual_add_nc_u32 v12, s1, v7
	v_cmp_gt_i32_e32 vcc_lo, s17, v9
	s_delay_alu instid0(VALU_DEP_2) | instskip(SKIP_1) | instid1(VALU_DEP_4)
	v_cndmask_b32_e64 v11, v11, s26, s19
	v_add_nc_u32_e32 v13, s1, v0
	v_cndmask_b32_e64 v12, v12, 0, s19
	s_delay_alu instid0(VALU_DEP_3) | instskip(NEXT) | instid1(VALU_DEP_3)
	v_cndmask_b32_e32 v11, v11, v9, vcc_lo
	v_cmp_gt_i32_e32 vcc_lo, 0, v13
	s_delay_alu instid0(VALU_DEP_2) | instskip(NEXT) | instid1(VALU_DEP_4)
	v_mad_u32 v11, v11, s16, v2
	v_cndmask_b32_e32 v12, v13, v12, vcc_lo
	s_delay_alu instid0(VALU_DEP_1)
	v_mad_u32 v12, v12, s16, v2
	s_branch .LBB4_8
.LBB4_13:
	s_wait_kmcnt 0x0
	s_delay_alu instid0(VALU_DEP_1)
	v_add_nc_u64_e32 v[0:1], s[20:21], v[4:5]
	v_cndmask_b32_e64 v2, 0, 1, s2
	global_store_b8 v[0:1], v2, off
.LBB4_14:
	s_endpgm
	.section	.rodata,"a",@progbits
	.p2align	6, 0x0
	.amdhsa_kernel _Z13relextrema_2DIiEviiibiPKT_Pb
		.amdhsa_group_segment_fixed_size 0
		.amdhsa_private_segment_fixed_size 0
		.amdhsa_kernarg_size 296
		.amdhsa_user_sgpr_count 2
		.amdhsa_user_sgpr_dispatch_ptr 0
		.amdhsa_user_sgpr_queue_ptr 0
		.amdhsa_user_sgpr_kernarg_segment_ptr 1
		.amdhsa_user_sgpr_dispatch_id 0
		.amdhsa_user_sgpr_kernarg_preload_length 0
		.amdhsa_user_sgpr_kernarg_preload_offset 0
		.amdhsa_user_sgpr_private_segment_size 0
		.amdhsa_wavefront_size32 1
		.amdhsa_uses_dynamic_stack 0
		.amdhsa_enable_private_segment 0
		.amdhsa_system_sgpr_workgroup_id_x 1
		.amdhsa_system_sgpr_workgroup_id_y 1
		.amdhsa_system_sgpr_workgroup_id_z 0
		.amdhsa_system_sgpr_workgroup_info 0
		.amdhsa_system_vgpr_workitem_id 1
		.amdhsa_next_free_vgpr 44
		.amdhsa_next_free_sgpr 48
		.amdhsa_named_barrier_count 0
		.amdhsa_reserve_vcc 1
		.amdhsa_float_round_mode_32 0
		.amdhsa_float_round_mode_16_64 0
		.amdhsa_float_denorm_mode_32 3
		.amdhsa_float_denorm_mode_16_64 3
		.amdhsa_fp16_overflow 0
		.amdhsa_memory_ordered 1
		.amdhsa_forward_progress 1
		.amdhsa_inst_pref_size 15
		.amdhsa_round_robin_scheduling 0
		.amdhsa_exception_fp_ieee_invalid_op 0
		.amdhsa_exception_fp_denorm_src 0
		.amdhsa_exception_fp_ieee_div_zero 0
		.amdhsa_exception_fp_ieee_overflow 0
		.amdhsa_exception_fp_ieee_underflow 0
		.amdhsa_exception_fp_ieee_inexact 0
		.amdhsa_exception_int_div_zero 0
	.end_amdhsa_kernel
	.section	.text._Z13relextrema_2DIiEviiibiPKT_Pb,"axG",@progbits,_Z13relextrema_2DIiEviiibiPKT_Pb,comdat
.Lfunc_end4:
	.size	_Z13relextrema_2DIiEviiibiPKT_Pb, .Lfunc_end4-_Z13relextrema_2DIiEviiibiPKT_Pb
                                        ; -- End function
	.set _Z13relextrema_2DIiEviiibiPKT_Pb.num_vgpr, 44
	.set _Z13relextrema_2DIiEviiibiPKT_Pb.num_agpr, 0
	.set _Z13relextrema_2DIiEviiibiPKT_Pb.numbered_sgpr, 48
	.set _Z13relextrema_2DIiEviiibiPKT_Pb.num_named_barrier, 0
	.set _Z13relextrema_2DIiEviiibiPKT_Pb.private_seg_size, 0
	.set _Z13relextrema_2DIiEviiibiPKT_Pb.uses_vcc, 1
	.set _Z13relextrema_2DIiEviiibiPKT_Pb.uses_flat_scratch, 0
	.set _Z13relextrema_2DIiEviiibiPKT_Pb.has_dyn_sized_stack, 0
	.set _Z13relextrema_2DIiEviiibiPKT_Pb.has_recursion, 0
	.set _Z13relextrema_2DIiEviiibiPKT_Pb.has_indirect_call, 0
	.section	.AMDGPU.csdata,"",@progbits
; Kernel info:
; codeLenInByte = 1828
; TotalNumSgprs: 50
; NumVgprs: 44
; ScratchSize: 0
; MemoryBound: 0
; FloatMode: 240
; IeeeMode: 1
; LDSByteSize: 0 bytes/workgroup (compile time only)
; SGPRBlocks: 0
; VGPRBlocks: 2
; NumSGPRsForWavesPerEU: 50
; NumVGPRsForWavesPerEU: 44
; NamedBarCnt: 0
; Occupancy: 16
; WaveLimiterHint : 0
; COMPUTE_PGM_RSRC2:SCRATCH_EN: 0
; COMPUTE_PGM_RSRC2:USER_SGPR: 2
; COMPUTE_PGM_RSRC2:TRAP_HANDLER: 0
; COMPUTE_PGM_RSRC2:TGID_X_EN: 1
; COMPUTE_PGM_RSRC2:TGID_Y_EN: 1
; COMPUTE_PGM_RSRC2:TGID_Z_EN: 0
; COMPUTE_PGM_RSRC2:TIDIG_COMP_CNT: 1
	.section	.text._Z13relextrema_2DIlEviiibiPKT_Pb,"axG",@progbits,_Z13relextrema_2DIlEviiibiPKT_Pb,comdat
	.protected	_Z13relextrema_2DIlEviiibiPKT_Pb ; -- Begin function _Z13relextrema_2DIlEviiibiPKT_Pb
	.globl	_Z13relextrema_2DIlEviiibiPKT_Pb
	.p2align	8
	.type	_Z13relextrema_2DIlEviiibiPKT_Pb,@function
_Z13relextrema_2DIlEviiibiPKT_Pb:       ; @_Z13relextrema_2DIlEviiibiPKT_Pb
; %bb.0:
	s_clause 0x1
	s_load_b32 s2, s[0:1], 0x34
	s_load_b128 s[4:7], s[0:1], 0x0
	s_bfe_u32 s8, ttmp6, 0x4000c
	s_bfe_u32 s9, ttmp6, 0x40010
	s_add_co_i32 s8, s8, 1
	s_add_co_i32 s9, s9, 1
	s_and_b32 s3, ttmp6, 15
	s_bfe_u32 s10, ttmp6, 0x40004
	s_mul_i32 s8, ttmp9, s8
	s_mul_i32 s9, ttmp7, s9
	s_getreg_b32 s11, hwreg(HW_REG_IB_STS2, 6, 4)
	v_and_b32_e32 v1, 0x3ff, v0
	v_bfe_u32 v0, v0, 10, 10
	s_add_co_i32 s3, s3, s8
	s_add_co_i32 s10, s10, s9
	s_wait_kmcnt 0x0
	s_lshr_b32 s8, s2, 16
	s_and_b32 s2, s2, 0xffff
	s_cmp_eq_u32 s11, 0
	s_cselect_b32 s9, ttmp7, s10
	s_cselect_b32 s3, ttmp9, s3
	v_mad_u32 v4, s9, s8, v0
	v_mad_u32 v5, s3, s2, v1
	s_delay_alu instid0(VALU_DEP_2) | instskip(NEXT) | instid1(VALU_DEP_2)
	v_cmp_gt_i32_e32 vcc_lo, s5, v4
	v_cmp_gt_i32_e64 s2, s4, v5
	s_and_b32 s2, vcc_lo, s2
	s_delay_alu instid0(SALU_CYCLE_1)
	s_and_saveexec_b32 s3, s2
	s_cbranch_execz .LBB5_9
; %bb.1:
	v_mul_lo_u32 v6, v4, s4
	s_load_b32 s2, s[0:1], 0x10
	s_cmp_lt_i32 s6, 1
	s_mov_b32 s3, -1
	s_delay_alu instid0(VALU_DEP_1) | instskip(NEXT) | instid1(VALU_DEP_1)
	v_add_nc_u32_e32 v0, v6, v5
	v_ashrrev_i32_e32 v1, 31, v0
	s_cbranch_scc1 .LBB5_8
; %bb.2:
	s_load_b64 s[8:9], s[0:1], 0x18
	s_bitcmp1_b32 s7, 0
	s_mov_b32 s13, 1
	s_cselect_b32 s7, -1, 0
	s_wait_kmcnt 0x0
	s_cmp_lg_u32 s2, 0
	s_cselect_b32 s10, -1, 0
	s_add_co_i32 s11, s4, -1
	s_add_co_i32 s12, s5, -1
	v_lshl_add_u64 v[2:3], v[0:1], 3, s[8:9]
	global_load_b64 v[2:3], v[2:3], off
	s_branch .LBB5_4
.LBB5_3:                                ;   in Loop: Header=BB5_4 Depth=1
	s_clause 0x1
	global_load_b64 v[10:11], v7, s[8:9] scale_offset
	global_load_b64 v[12:13], v8, s[8:9] scale_offset
	s_wait_loadcnt 0x1
	v_cmp_gt_i64_e32 vcc_lo, v[2:3], v[10:11]
	s_wait_loadcnt 0x0
	v_cmp_ge_i64_e64 s2, v[2:3], v[12:13]
	s_and_b32 s2, vcc_lo, s2
	s_delay_alu instid0(SALU_CYCLE_1)
	s_and_b32 s3, s3, s2
	s_add_co_i32 s2, s13, 1
	s_cmp_eq_u32 s13, s6
	s_mov_b32 s13, s2
	s_cbranch_scc1 .LBB5_8
.LBB5_4:                                ; =>This Inner Loop Header: Depth=1
	s_and_b32 vcc_lo, exec_lo, s10
	s_mov_b32 s2, -1
                                        ; implicit-def: $vgpr8
                                        ; implicit-def: $vgpr7
	s_cbranch_vccz .LBB5_6
; %bb.5:                                ;   in Loop: Header=BB5_4 Depth=1
	v_subrev_nc_u32_e32 v8, s13, v5
	v_add_nc_u32_e32 v7, s13, v5
	s_mov_b32 s2, 0
	s_delay_alu instid0(VALU_DEP_2) | instskip(NEXT) | instid1(VALU_DEP_2)
	v_add_nc_u32_e32 v10, s4, v8
	v_subrev_nc_u32_e32 v9, s4, v7
	v_cmp_gt_i32_e32 vcc_lo, s4, v7
	s_delay_alu instid0(VALU_DEP_3) | instskip(NEXT) | instid1(VALU_DEP_3)
	v_cndmask_b32_e64 v10, v10, 0, s7
	v_cndmask_b32_e64 v9, v9, s11, s7
	s_delay_alu instid0(VALU_DEP_1) | instskip(SKIP_1) | instid1(VALU_DEP_4)
	v_cndmask_b32_e32 v7, v9, v7, vcc_lo
	v_cmp_gt_i32_e32 vcc_lo, 0, v8
	v_cndmask_b32_e32 v8, v8, v10, vcc_lo
	s_delay_alu instid0(VALU_DEP_1)
	v_dual_add_nc_u32 v7, v7, v6 :: v_dual_add_nc_u32 v8, v8, v6
.LBB5_6:                                ;   in Loop: Header=BB5_4 Depth=1
	s_and_not1_b32 vcc_lo, exec_lo, s2
	s_cbranch_vccnz .LBB5_3
; %bb.7:                                ;   in Loop: Header=BB5_4 Depth=1
	v_subrev_nc_u32_e32 v8, s13, v4
	s_delay_alu instid0(VALU_DEP_1) | instskip(NEXT) | instid1(VALU_DEP_1)
	v_add_nc_u32_e32 v10, s5, v8
	v_cndmask_b32_e64 v10, v10, 0, s7
	v_add_nc_u32_e32 v7, s13, v4
	s_delay_alu instid0(VALU_DEP_1) | instskip(SKIP_1) | instid1(VALU_DEP_2)
	v_subrev_nc_u32_e32 v9, s5, v7
	v_cmp_gt_i32_e32 vcc_lo, s5, v7
	v_cndmask_b32_e64 v9, v9, s12, s7
	s_delay_alu instid0(VALU_DEP_1) | instskip(SKIP_1) | instid1(VALU_DEP_2)
	v_cndmask_b32_e32 v7, v9, v7, vcc_lo
	v_cmp_gt_i32_e32 vcc_lo, 0, v8
	v_mad_u32 v7, v7, s4, v5
	v_cndmask_b32_e32 v8, v8, v10, vcc_lo
	s_delay_alu instid0(VALU_DEP_1)
	v_mad_u32 v8, v8, s4, v5
	s_branch .LBB5_3
.LBB5_8:
	s_wait_xcnt 0x0
	s_load_b64 s[0:1], s[0:1], 0x20
	v_cndmask_b32_e64 v2, 0, 1, s3
	s_wait_kmcnt 0x0
	v_add_nc_u64_e32 v[0:1], s[0:1], v[0:1]
	global_store_b8 v[0:1], v2, off
.LBB5_9:
	s_endpgm
	.section	.rodata,"a",@progbits
	.p2align	6, 0x0
	.amdhsa_kernel _Z13relextrema_2DIlEviiibiPKT_Pb
		.amdhsa_group_segment_fixed_size 0
		.amdhsa_private_segment_fixed_size 0
		.amdhsa_kernarg_size 296
		.amdhsa_user_sgpr_count 2
		.amdhsa_user_sgpr_dispatch_ptr 0
		.amdhsa_user_sgpr_queue_ptr 0
		.amdhsa_user_sgpr_kernarg_segment_ptr 1
		.amdhsa_user_sgpr_dispatch_id 0
		.amdhsa_user_sgpr_kernarg_preload_length 0
		.amdhsa_user_sgpr_kernarg_preload_offset 0
		.amdhsa_user_sgpr_private_segment_size 0
		.amdhsa_wavefront_size32 1
		.amdhsa_uses_dynamic_stack 0
		.amdhsa_enable_private_segment 0
		.amdhsa_system_sgpr_workgroup_id_x 1
		.amdhsa_system_sgpr_workgroup_id_y 1
		.amdhsa_system_sgpr_workgroup_id_z 0
		.amdhsa_system_sgpr_workgroup_info 0
		.amdhsa_system_vgpr_workitem_id 1
		.amdhsa_next_free_vgpr 14
		.amdhsa_next_free_sgpr 14
		.amdhsa_named_barrier_count 0
		.amdhsa_reserve_vcc 1
		.amdhsa_float_round_mode_32 0
		.amdhsa_float_round_mode_16_64 0
		.amdhsa_float_denorm_mode_32 3
		.amdhsa_float_denorm_mode_16_64 3
		.amdhsa_fp16_overflow 0
		.amdhsa_memory_ordered 1
		.amdhsa_forward_progress 1
		.amdhsa_inst_pref_size 5
		.amdhsa_round_robin_scheduling 0
		.amdhsa_exception_fp_ieee_invalid_op 0
		.amdhsa_exception_fp_denorm_src 0
		.amdhsa_exception_fp_ieee_div_zero 0
		.amdhsa_exception_fp_ieee_overflow 0
		.amdhsa_exception_fp_ieee_underflow 0
		.amdhsa_exception_fp_ieee_inexact 0
		.amdhsa_exception_int_div_zero 0
	.end_amdhsa_kernel
	.section	.text._Z13relextrema_2DIlEviiibiPKT_Pb,"axG",@progbits,_Z13relextrema_2DIlEviiibiPKT_Pb,comdat
.Lfunc_end5:
	.size	_Z13relextrema_2DIlEviiibiPKT_Pb, .Lfunc_end5-_Z13relextrema_2DIlEviiibiPKT_Pb
                                        ; -- End function
	.set _Z13relextrema_2DIlEviiibiPKT_Pb.num_vgpr, 14
	.set _Z13relextrema_2DIlEviiibiPKT_Pb.num_agpr, 0
	.set _Z13relextrema_2DIlEviiibiPKT_Pb.numbered_sgpr, 14
	.set _Z13relextrema_2DIlEviiibiPKT_Pb.num_named_barrier, 0
	.set _Z13relextrema_2DIlEviiibiPKT_Pb.private_seg_size, 0
	.set _Z13relextrema_2DIlEviiibiPKT_Pb.uses_vcc, 1
	.set _Z13relextrema_2DIlEviiibiPKT_Pb.uses_flat_scratch, 0
	.set _Z13relextrema_2DIlEviiibiPKT_Pb.has_dyn_sized_stack, 0
	.set _Z13relextrema_2DIlEviiibiPKT_Pb.has_recursion, 0
	.set _Z13relextrema_2DIlEviiibiPKT_Pb.has_indirect_call, 0
	.section	.AMDGPU.csdata,"",@progbits
; Kernel info:
; codeLenInByte = 576
; TotalNumSgprs: 16
; NumVgprs: 14
; ScratchSize: 0
; MemoryBound: 0
; FloatMode: 240
; IeeeMode: 1
; LDSByteSize: 0 bytes/workgroup (compile time only)
; SGPRBlocks: 0
; VGPRBlocks: 0
; NumSGPRsForWavesPerEU: 16
; NumVGPRsForWavesPerEU: 14
; NamedBarCnt: 0
; Occupancy: 16
; WaveLimiterHint : 0
; COMPUTE_PGM_RSRC2:SCRATCH_EN: 0
; COMPUTE_PGM_RSRC2:USER_SGPR: 2
; COMPUTE_PGM_RSRC2:TRAP_HANDLER: 0
; COMPUTE_PGM_RSRC2:TGID_X_EN: 1
; COMPUTE_PGM_RSRC2:TGID_Y_EN: 1
; COMPUTE_PGM_RSRC2:TGID_Z_EN: 0
; COMPUTE_PGM_RSRC2:TIDIG_COMP_CNT: 1
	.section	.text._Z13relextrema_2DIfEviiibiPKT_Pb,"axG",@progbits,_Z13relextrema_2DIfEviiibiPKT_Pb,comdat
	.protected	_Z13relextrema_2DIfEviiibiPKT_Pb ; -- Begin function _Z13relextrema_2DIfEviiibiPKT_Pb
	.globl	_Z13relextrema_2DIfEviiibiPKT_Pb
	.p2align	8
	.type	_Z13relextrema_2DIfEviiibiPKT_Pb,@function
_Z13relextrema_2DIfEviiibiPKT_Pb:       ; @_Z13relextrema_2DIfEviiibiPKT_Pb
; %bb.0:
	s_clause 0x1
	s_load_b32 s2, s[0:1], 0x34
	s_load_b128 s[16:19], s[0:1], 0x0
	s_bfe_u32 s4, ttmp6, 0x4000c
	s_bfe_u32 s5, ttmp6, 0x40010
	s_add_co_i32 s4, s4, 1
	s_add_co_i32 s5, s5, 1
	s_and_b32 s3, ttmp6, 15
	s_bfe_u32 s6, ttmp6, 0x40004
	s_mul_i32 s4, ttmp9, s4
	s_mul_i32 s5, ttmp7, s5
	s_getreg_b32 s7, hwreg(HW_REG_IB_STS2, 6, 4)
	s_add_co_i32 s3, s3, s4
	s_add_co_i32 s6, s6, s5
	v_and_b32_e32 v10, 0x3ff, v0
	v_bfe_u32 v11, v0, 10, 10
	s_wait_kmcnt 0x0
	s_lshr_b32 s4, s2, 16
	s_and_b32 s2, s2, 0xffff
	s_cmp_eq_u32 s7, 0
	s_cselect_b32 s27, ttmp7, s6
	s_cselect_b32 s28, ttmp9, s3
	s_mul_i32 s27, s27, s4
	s_mul_i32 s28, s28, s2
	s_delay_alu instid0(SALU_CYCLE_1) | instskip(NEXT) | instid1(VALU_DEP_1)
	v_dual_add_nc_u32 v0, s27, v11 :: v_dual_add_nc_u32 v2, s28, v10
	v_cmp_gt_i32_e32 vcc_lo, s17, v0
	s_delay_alu instid0(VALU_DEP_2) | instskip(SKIP_1) | instid1(SALU_CYCLE_1)
	v_cmp_gt_i32_e64 s2, s16, v2
	s_and_b32 s2, vcc_lo, s2
	s_and_saveexec_b32 s3, s2
	s_cbranch_execz .LBB6_14
; %bb.1:
	v_mul_lo_u32 v6, v0, s16
	s_clause 0x1
	s_load_b32 s3, s[0:1], 0x10
	s_load_b64 s[20:21], s[0:1], 0x20
	s_cmp_lt_i32 s18, 1
	s_mov_b32 s2, -1
	s_delay_alu instid0(VALU_DEP_1) | instskip(NEXT) | instid1(VALU_DEP_1)
	v_add_nc_u32_e32 v4, v6, v2
	v_ashrrev_i32_e32 v5, 31, v4
	s_cbranch_scc1 .LBB6_13
; %bb.2:
	s_load_b64 s[22:23], s[0:1], 0x18
	s_bitcmp1_b32 s19, 0
	s_mov_b32 s30, 2
	s_cselect_b32 s19, -1, 0
	s_wait_kmcnt 0x0
	s_cmp_eq_u32 s3, 0
	s_cselect_b32 vcc_lo, -1, 0
	s_cmp_lg_u32 s3, 0
	s_cselect_b32 s24, -1, 0
	s_add_co_i32 s25, s16, -1
	s_add_co_i32 s26, s17, -1
	s_cmp_lt_u32 s18, 4
	v_lshl_add_u64 v[8:9], v[4:5], 2, s[22:23]
	global_load_b32 v8, v[8:9], off
	s_cbranch_scc1 .LBB6_6
; %bb.3:
	v_dual_mov_b32 v1, v2 :: v_dual_mov_b32 v3, v6
	s_wait_loadcnt 0x0
	v_dual_mov_b32 v7, v0 :: v_dual_mov_b32 v9, v8
	s_and_b32 s29, s18, 0x7ffffffc
	s_mov_b32 s31, s25
	s_mov_b32 s33, s26
	s_mov_b32 s34, s16
	s_mov_b32 s35, s16
	s_mov_b32 s36, s17
	s_mov_b32 s37, s17
	s_mov_b32 s38, -1
	s_mov_b32 s39, 1
	s_mov_b32 s40, -1
	s_mov_b32 s41, -1
	;; [unrolled: 1-line block ×3, first 2 shown]
	s_mov_b32 s43, s29
                                        ; implicit-def: $sgpr44
                                        ; implicit-def: $sgpr45
                                        ; implicit-def: $sgpr47
                                        ; implicit-def: $sgpr46
.LBB6_4:                                ; =>This Inner Loop Header: Depth=1
	s_add_co_i32 s1, s30, 2
	v_dual_add_nc_u32 v16, s30, v7 :: v_dual_add_nc_u32 v17, s39, v0
	v_subrev_nc_u32_e32 v18, s30, v7
	v_subrev_nc_u32_e32 v19, s39, v0
	s_add_co_i32 s0, s39, 2
	s_delay_alu instid0(SALU_CYCLE_1)
	v_dual_add_nc_u32 v24, s1, v7 :: v_dual_add_nc_u32 v25, s0, v0
	v_subrev_nc_u32_e32 v26, s1, v7
	v_subrev_nc_u32_e32 v27, s0, v0
	;; [unrolled: 1-line block ×4, first 2 shown]
	v_dual_add_nc_u32 v12, s30, v1 :: v_dual_add_nc_u32 v13, s39, v2
	v_dual_add_nc_u32 v34, s37, v18 :: v_dual_add_nc_u32 v35, s36, v19
	v_subrev_nc_u32_e32 v14, s30, v1
	v_subrev_nc_u32_e32 v15, s39, v2
	;; [unrolled: 1-line block ×3, first 2 shown]
	v_dual_add_nc_u32 v42, s37, v26 :: v_dual_add_nc_u32 v43, s36, v27
	v_dual_add_nc_u32 v20, s1, v1 :: v_dual_add_nc_u32 v21, s0, v2
	v_subrev_nc_u32_e32 v22, s1, v1
	v_subrev_nc_u32_e32 v23, s0, v2
	;; [unrolled: 1-line block ×3, first 2 shown]
	v_cndmask_b32_e64 v33, v33, s26, s19
	v_cmp_gt_i32_e64 s4, s36, v17
	v_cndmask_b32_e64 v32, v32, s33, s19
	v_cmp_gt_i32_e64 s5, s37, v16
	v_subrev_nc_u32_e32 v28, s35, v12
	v_subrev_nc_u32_e32 v29, s34, v13
	v_cndmask_b32_e64 v35, v35, 0, s19
	v_cmp_gt_i32_e64 s6, 0, v19
	v_cndmask_b32_e64 v34, v34, 0, s19
	v_cmp_gt_i32_e64 s7, 0, v18
	v_dual_add_nc_u32 v30, s35, v14 :: v_dual_add_nc_u32 v31, s34, v15
	v_cndmask_b32_e64 v40, v40, s33, s19
	v_cmp_gt_i32_e64 s13, s37, v24
	v_cndmask_b32_e64 v42, v42, 0, s19
	v_cmp_gt_i32_e64 s15, 0, v26
	v_subrev_nc_u32_e32 v36, s35, v20
	v_subrev_nc_u32_e32 v37, s34, v21
	v_dual_add_nc_u32 v38, s35, v22 :: v_dual_add_nc_u32 v39, s34, v23
	v_cndmask_b32_e64 v41, v41, s26, s19
	v_cmp_gt_i32_e64 s12, s36, v25
	v_cndmask_b32_e64 v43, v43, 0, s19
	v_cmp_gt_i32_e64 s14, 0, v27
	v_dual_cndmask_b32 v16, v32, v16, s5 :: v_dual_cndmask_b32 v17, v33, v17, s4
	v_cndmask_b32_e64 v29, v29, s25, s19
	v_cmp_gt_i32_e64 s0, s34, v13
	v_cndmask_b32_e64 v28, v28, s31, s19
	v_cmp_gt_i32_e64 s1, s35, v12
	v_dual_cndmask_b32 v18, v18, v34, s7 :: v_dual_cndmask_b32 v19, v19, v35, s6
	;; [unrolled: 5-line block ×3, first 2 shown]
	v_dual_cndmask_b32 v26, v26, v42, s15 :: v_dual_cndmask_b32 v27, v27, v43, s14
	v_cndmask_b32_e64 v37, v37, s25, s19
	v_cmp_gt_i32_e64 s8, s34, v21
	v_cndmask_b32_e64 v36, v36, s31, s19
	v_cmp_gt_i32_e64 s9, s35, v20
	v_cndmask_b32_e64 v39, v39, 0, s19
	v_cmp_gt_i32_e64 s10, 0, v23
	v_cndmask_b32_e64 v38, v38, 0, s19
	v_cmp_gt_i32_e64 s11, 0, v22
	v_mad_u32 v17, v17, s34, v2
	v_mad_u32 v16, v16, s35, v1
	v_dual_cndmask_b32 v12, v28, v12, s1 :: v_dual_cndmask_b32 v13, v29, v13, s0
	v_mad_u32 v19, v19, s34, v2
	v_mad_u32 v18, v18, s35, v1
	v_dual_cndmask_b32 v14, v14, v30, s3 :: v_dual_cndmask_b32 v15, v15, v31, s2
	;; [unrolled: 3-line block ×3, first 2 shown]
	v_dual_cndmask_b32 v22, v22, v38, s11 :: v_dual_cndmask_b32 v23, v23, v39, s10
	v_mad_u32 v25, v25, s34, v2
	v_mad_u32 v27, v27, s34, v2
	v_dual_add_nc_u32 v13, v13, v6 :: v_dual_add_nc_u32 v12, v12, v3
	v_dual_add_nc_u32 v15, v15, v6 :: v_dual_add_nc_u32 v14, v14, v3
	;; [unrolled: 1-line block ×4, first 2 shown]
	s_delay_alu instid0(VALU_DEP_4) | instskip(NEXT) | instid1(VALU_DEP_4)
	v_dual_cndmask_b32 v12, v12, v16 :: v_dual_cndmask_b32 v13, v13, v17
	v_dual_cndmask_b32 v14, v14, v18 :: v_dual_cndmask_b32 v15, v15, v19
	s_delay_alu instid0(VALU_DEP_3) | instskip(NEXT) | instid1(VALU_DEP_4)
	v_dual_cndmask_b32 v16, v20, v24 :: v_dual_cndmask_b32 v17, v22, v26
	v_dual_cndmask_b32 v18, v21, v25 :: v_dual_cndmask_b32 v19, v23, v27
	s_clause 0x7
	global_load_b32 v20, v13, s[22:23] scale_offset
	global_load_b32 v21, v15, s[22:23] scale_offset
	;; [unrolled: 1-line block ×8, first 2 shown]
	s_and_not1_b32 s8, s46, exec_lo
	s_and_not1_b32 s9, s47, exec_lo
	;; [unrolled: 1-line block ×4, first 2 shown]
	s_add_co_i32 s43, s43, -4
	s_add_co_i32 s39, s39, 4
	s_add_co_i32 s30, s30, 4
	s_wait_loadcnt 0x7
	v_cmp_gt_f32_e64 s0, v8, v20
	s_wait_loadcnt 0x6
	v_cmp_ge_f32_e64 s1, v8, v21
	s_wait_loadcnt 0x5
	v_cmp_ge_f32_e64 s7, v9, v22
	;; [unrolled: 2-line block ×3, first 2 shown]
	s_wait_loadcnt 0x3
	v_cmp_gt_f32_e64 s3, v9, v24
	s_wait_loadcnt 0x2
	v_cmp_gt_f32_e64 s2, v9, v25
	;; [unrolled: 2-line block ×3, first 2 shown]
	s_wait_loadcnt 0x0
	v_cmp_ge_f32_e64 s6, v8, v27
	s_and_b32 s0, s0, s1
	s_and_b32 s3, s3, s7
	;; [unrolled: 1-line block ×7, first 2 shown]
	s_and_b32 s0, s42, exec_lo
	s_and_b32 s40, s40, s2
	s_or_b32 s46, s8, s0
	s_and_b32 s0, s41, exec_lo
	s_and_b32 s1, s40, exec_lo
	;; [unrolled: 1-line block ×3, first 2 shown]
	s_or_b32 s47, s9, s0
	s_or_b32 s45, s10, s1
	;; [unrolled: 1-line block ×3, first 2 shown]
	s_cmp_lg_u32 s43, 0
	s_cbranch_scc1 .LBB6_4
; %bb.5:
	s_and_b32 s0, s44, s47
	s_delay_alu instid0(SALU_CYCLE_1) | instskip(SKIP_1) | instid1(SALU_CYCLE_1)
	v_cndmask_b32_e64 v1, 0, 1, s0
	s_and_b32 s0, s45, s46
	v_cndmask_b32_e64 v3, 0, 1, s0
	s_or_b32 s0, s29, 1
	s_delay_alu instid0(VALU_DEP_2) | instskip(SKIP_2) | instid1(VALU_DEP_1)
	v_lshlrev_b16 v1, 1, v1
	s_cmp_lg_u32 s18, s29
	s_cselect_b32 s1, -1, 0
	v_bitop3_b16 v1, v3, 3, v1 bitop3:0xc8
	s_delay_alu instid0(VALU_DEP_1)
	v_cmp_eq_u16_e64 s2, 3, v1
	s_and_b32 vcc_lo, exec_lo, s1
	s_cbranch_vccnz .LBB6_7
	s_branch .LBB6_13
.LBB6_6:
	s_mov_b32 s0, 1
	s_cbranch_execz .LBB6_13
.LBB6_7:
	v_add3_u32 v1, s28, s16, v10
	v_add3_u32 v3, s28, s0, v10
	;; [unrolled: 1-line block ×3, first 2 shown]
	s_wait_xcnt 0x0
	v_add3_u32 v9, s27, s0, v11
	v_mov_b32_e32 v10, v2
	s_sub_co_i32 s1, 0, s0
	s_not_b32 s3, s18
	s_sub_co_i32 s4, 0, s16
	s_sub_co_i32 s5, 0, s17
	s_branch .LBB6_9
.LBB6_8:                                ;   in Loop: Header=BB6_9 Depth=1
	s_clause 0x1
	global_load_b32 v13, v11, s[22:23] scale_offset
	global_load_b32 v14, v12, s[22:23] scale_offset
	v_dual_add_nc_u32 v10, -1, v10 :: v_dual_add_nc_u32 v1, -1, v1
	v_dual_add_nc_u32 v3, 1, v3 :: v_dual_add_nc_u32 v0, -1, v0
	v_dual_add_nc_u32 v7, -1, v7 :: v_dual_add_nc_u32 v9, 1, v9
	s_add_co_i32 s3, s3, 1
	s_wait_loadcnt 0x1
	v_cmp_gt_f32_e32 vcc_lo, v8, v13
	s_wait_loadcnt 0x0
	v_cmp_ge_f32_e64 s0, v8, v14
	s_and_b32 s0, vcc_lo, s0
	s_delay_alu instid0(SALU_CYCLE_1)
	s_and_b32 s2, s2, s0
	s_cmp_eq_u32 s1, s3
	s_cbranch_scc1 .LBB6_13
.LBB6_9:                                ; =>This Inner Loop Header: Depth=1
	s_and_b32 vcc_lo, exec_lo, s24
	s_mov_b32 s0, -1
                                        ; implicit-def: $vgpr12
                                        ; implicit-def: $vgpr11
	s_cbranch_vccz .LBB6_11
; %bb.10:                               ;   in Loop: Header=BB6_9 Depth=1
	v_dual_add_nc_u32 v11, s4, v3 :: v_dual_add_nc_u32 v12, s1, v1
	v_cmp_gt_i32_e32 vcc_lo, s16, v3
	s_mov_b32 s0, 0
	s_delay_alu instid0(VALU_DEP_2) | instskip(SKIP_2) | instid1(VALU_DEP_3)
	v_cndmask_b32_e64 v11, v11, s25, s19
	v_add_nc_u32_e32 v13, s1, v10
	v_cndmask_b32_e64 v12, v12, 0, s19
	v_cndmask_b32_e32 v11, v11, v3, vcc_lo
	s_delay_alu instid0(VALU_DEP_3) | instskip(NEXT) | instid1(VALU_DEP_2)
	v_cmp_gt_i32_e32 vcc_lo, 0, v13
	v_dual_cndmask_b32 v12, v13, v12 :: v_dual_add_nc_u32 v11, v11, v6
	s_delay_alu instid0(VALU_DEP_1)
	v_add_nc_u32_e32 v12, v12, v6
.LBB6_11:                               ;   in Loop: Header=BB6_9 Depth=1
	s_and_not1_b32 vcc_lo, exec_lo, s0
	s_cbranch_vccnz .LBB6_8
; %bb.12:                               ;   in Loop: Header=BB6_9 Depth=1
	v_dual_add_nc_u32 v11, s5, v9 :: v_dual_add_nc_u32 v12, s1, v7
	v_cmp_gt_i32_e32 vcc_lo, s17, v9
	s_delay_alu instid0(VALU_DEP_2) | instskip(SKIP_1) | instid1(VALU_DEP_4)
	v_cndmask_b32_e64 v11, v11, s26, s19
	v_add_nc_u32_e32 v13, s1, v0
	v_cndmask_b32_e64 v12, v12, 0, s19
	s_delay_alu instid0(VALU_DEP_3) | instskip(NEXT) | instid1(VALU_DEP_3)
	v_cndmask_b32_e32 v11, v11, v9, vcc_lo
	v_cmp_gt_i32_e32 vcc_lo, 0, v13
	s_delay_alu instid0(VALU_DEP_2) | instskip(NEXT) | instid1(VALU_DEP_4)
	v_mad_u32 v11, v11, s16, v2
	v_cndmask_b32_e32 v12, v13, v12, vcc_lo
	s_delay_alu instid0(VALU_DEP_1)
	v_mad_u32 v12, v12, s16, v2
	s_branch .LBB6_8
.LBB6_13:
	s_wait_kmcnt 0x0
	s_delay_alu instid0(VALU_DEP_1)
	v_add_nc_u64_e32 v[0:1], s[20:21], v[4:5]
	v_cndmask_b32_e64 v2, 0, 1, s2
	global_store_b8 v[0:1], v2, off
.LBB6_14:
	s_endpgm
	.section	.rodata,"a",@progbits
	.p2align	6, 0x0
	.amdhsa_kernel _Z13relextrema_2DIfEviiibiPKT_Pb
		.amdhsa_group_segment_fixed_size 0
		.amdhsa_private_segment_fixed_size 0
		.amdhsa_kernarg_size 296
		.amdhsa_user_sgpr_count 2
		.amdhsa_user_sgpr_dispatch_ptr 0
		.amdhsa_user_sgpr_queue_ptr 0
		.amdhsa_user_sgpr_kernarg_segment_ptr 1
		.amdhsa_user_sgpr_dispatch_id 0
		.amdhsa_user_sgpr_kernarg_preload_length 0
		.amdhsa_user_sgpr_kernarg_preload_offset 0
		.amdhsa_user_sgpr_private_segment_size 0
		.amdhsa_wavefront_size32 1
		.amdhsa_uses_dynamic_stack 0
		.amdhsa_enable_private_segment 0
		.amdhsa_system_sgpr_workgroup_id_x 1
		.amdhsa_system_sgpr_workgroup_id_y 1
		.amdhsa_system_sgpr_workgroup_id_z 0
		.amdhsa_system_sgpr_workgroup_info 0
		.amdhsa_system_vgpr_workitem_id 1
		.amdhsa_next_free_vgpr 44
		.amdhsa_next_free_sgpr 48
		.amdhsa_named_barrier_count 0
		.amdhsa_reserve_vcc 1
		.amdhsa_float_round_mode_32 0
		.amdhsa_float_round_mode_16_64 0
		.amdhsa_float_denorm_mode_32 3
		.amdhsa_float_denorm_mode_16_64 3
		.amdhsa_fp16_overflow 0
		.amdhsa_memory_ordered 1
		.amdhsa_forward_progress 1
		.amdhsa_inst_pref_size 15
		.amdhsa_round_robin_scheduling 0
		.amdhsa_exception_fp_ieee_invalid_op 0
		.amdhsa_exception_fp_denorm_src 0
		.amdhsa_exception_fp_ieee_div_zero 0
		.amdhsa_exception_fp_ieee_overflow 0
		.amdhsa_exception_fp_ieee_underflow 0
		.amdhsa_exception_fp_ieee_inexact 0
		.amdhsa_exception_int_div_zero 0
	.end_amdhsa_kernel
	.section	.text._Z13relextrema_2DIfEviiibiPKT_Pb,"axG",@progbits,_Z13relextrema_2DIfEviiibiPKT_Pb,comdat
.Lfunc_end6:
	.size	_Z13relextrema_2DIfEviiibiPKT_Pb, .Lfunc_end6-_Z13relextrema_2DIfEviiibiPKT_Pb
                                        ; -- End function
	.set _Z13relextrema_2DIfEviiibiPKT_Pb.num_vgpr, 44
	.set _Z13relextrema_2DIfEviiibiPKT_Pb.num_agpr, 0
	.set _Z13relextrema_2DIfEviiibiPKT_Pb.numbered_sgpr, 48
	.set _Z13relextrema_2DIfEviiibiPKT_Pb.num_named_barrier, 0
	.set _Z13relextrema_2DIfEviiibiPKT_Pb.private_seg_size, 0
	.set _Z13relextrema_2DIfEviiibiPKT_Pb.uses_vcc, 1
	.set _Z13relextrema_2DIfEviiibiPKT_Pb.uses_flat_scratch, 0
	.set _Z13relextrema_2DIfEviiibiPKT_Pb.has_dyn_sized_stack, 0
	.set _Z13relextrema_2DIfEviiibiPKT_Pb.has_recursion, 0
	.set _Z13relextrema_2DIfEviiibiPKT_Pb.has_indirect_call, 0
	.section	.AMDGPU.csdata,"",@progbits
; Kernel info:
; codeLenInByte = 1828
; TotalNumSgprs: 50
; NumVgprs: 44
; ScratchSize: 0
; MemoryBound: 0
; FloatMode: 240
; IeeeMode: 1
; LDSByteSize: 0 bytes/workgroup (compile time only)
; SGPRBlocks: 0
; VGPRBlocks: 2
; NumSGPRsForWavesPerEU: 50
; NumVGPRsForWavesPerEU: 44
; NamedBarCnt: 0
; Occupancy: 16
; WaveLimiterHint : 0
; COMPUTE_PGM_RSRC2:SCRATCH_EN: 0
; COMPUTE_PGM_RSRC2:USER_SGPR: 2
; COMPUTE_PGM_RSRC2:TRAP_HANDLER: 0
; COMPUTE_PGM_RSRC2:TGID_X_EN: 1
; COMPUTE_PGM_RSRC2:TGID_Y_EN: 1
; COMPUTE_PGM_RSRC2:TGID_Z_EN: 0
; COMPUTE_PGM_RSRC2:TIDIG_COMP_CNT: 1
	.section	.text._Z13relextrema_2DIdEviiibiPKT_Pb,"axG",@progbits,_Z13relextrema_2DIdEviiibiPKT_Pb,comdat
	.protected	_Z13relextrema_2DIdEviiibiPKT_Pb ; -- Begin function _Z13relextrema_2DIdEviiibiPKT_Pb
	.globl	_Z13relextrema_2DIdEviiibiPKT_Pb
	.p2align	8
	.type	_Z13relextrema_2DIdEviiibiPKT_Pb,@function
_Z13relextrema_2DIdEviiibiPKT_Pb:       ; @_Z13relextrema_2DIdEviiibiPKT_Pb
; %bb.0:
	s_clause 0x1
	s_load_b32 s2, s[0:1], 0x34
	s_load_b128 s[4:7], s[0:1], 0x0
	s_bfe_u32 s8, ttmp6, 0x4000c
	s_bfe_u32 s9, ttmp6, 0x40010
	s_add_co_i32 s8, s8, 1
	s_add_co_i32 s9, s9, 1
	s_and_b32 s3, ttmp6, 15
	s_bfe_u32 s10, ttmp6, 0x40004
	s_mul_i32 s8, ttmp9, s8
	s_mul_i32 s9, ttmp7, s9
	s_getreg_b32 s11, hwreg(HW_REG_IB_STS2, 6, 4)
	v_and_b32_e32 v1, 0x3ff, v0
	v_bfe_u32 v0, v0, 10, 10
	s_add_co_i32 s3, s3, s8
	s_add_co_i32 s10, s10, s9
	s_wait_kmcnt 0x0
	s_lshr_b32 s8, s2, 16
	s_and_b32 s2, s2, 0xffff
	s_cmp_eq_u32 s11, 0
	s_cselect_b32 s9, ttmp7, s10
	s_cselect_b32 s3, ttmp9, s3
	v_mad_u32 v4, s9, s8, v0
	v_mad_u32 v5, s3, s2, v1
	s_delay_alu instid0(VALU_DEP_2) | instskip(NEXT) | instid1(VALU_DEP_2)
	v_cmp_gt_i32_e32 vcc_lo, s5, v4
	v_cmp_gt_i32_e64 s2, s4, v5
	s_and_b32 s2, vcc_lo, s2
	s_delay_alu instid0(SALU_CYCLE_1)
	s_and_saveexec_b32 s3, s2
	s_cbranch_execz .LBB7_9
; %bb.1:
	v_mul_lo_u32 v6, v4, s4
	s_load_b32 s2, s[0:1], 0x10
	s_cmp_lt_i32 s6, 1
	s_mov_b32 s3, -1
	s_delay_alu instid0(VALU_DEP_1) | instskip(NEXT) | instid1(VALU_DEP_1)
	v_add_nc_u32_e32 v0, v6, v5
	v_ashrrev_i32_e32 v1, 31, v0
	s_cbranch_scc1 .LBB7_8
; %bb.2:
	s_load_b64 s[8:9], s[0:1], 0x18
	s_bitcmp1_b32 s7, 0
	s_mov_b32 s13, 1
	s_cselect_b32 s7, -1, 0
	s_wait_kmcnt 0x0
	s_cmp_lg_u32 s2, 0
	s_cselect_b32 s10, -1, 0
	s_add_co_i32 s11, s4, -1
	s_add_co_i32 s12, s5, -1
	v_lshl_add_u64 v[2:3], v[0:1], 3, s[8:9]
	global_load_b64 v[2:3], v[2:3], off
	s_branch .LBB7_4
.LBB7_3:                                ;   in Loop: Header=BB7_4 Depth=1
	s_clause 0x1
	global_load_b64 v[10:11], v7, s[8:9] scale_offset
	global_load_b64 v[12:13], v8, s[8:9] scale_offset
	s_wait_loadcnt 0x1
	v_cmp_gt_f64_e32 vcc_lo, v[2:3], v[10:11]
	s_wait_loadcnt 0x0
	v_cmp_ge_f64_e64 s2, v[2:3], v[12:13]
	s_and_b32 s2, vcc_lo, s2
	s_delay_alu instid0(SALU_CYCLE_1)
	s_and_b32 s3, s3, s2
	s_add_co_i32 s2, s13, 1
	s_cmp_eq_u32 s13, s6
	s_mov_b32 s13, s2
	s_cbranch_scc1 .LBB7_8
.LBB7_4:                                ; =>This Inner Loop Header: Depth=1
	s_and_b32 vcc_lo, exec_lo, s10
	s_mov_b32 s2, -1
                                        ; implicit-def: $vgpr8
                                        ; implicit-def: $vgpr7
	s_cbranch_vccz .LBB7_6
; %bb.5:                                ;   in Loop: Header=BB7_4 Depth=1
	v_subrev_nc_u32_e32 v8, s13, v5
	v_add_nc_u32_e32 v7, s13, v5
	s_mov_b32 s2, 0
	s_delay_alu instid0(VALU_DEP_2) | instskip(NEXT) | instid1(VALU_DEP_2)
	v_add_nc_u32_e32 v10, s4, v8
	v_subrev_nc_u32_e32 v9, s4, v7
	v_cmp_gt_i32_e32 vcc_lo, s4, v7
	s_delay_alu instid0(VALU_DEP_3) | instskip(NEXT) | instid1(VALU_DEP_3)
	v_cndmask_b32_e64 v10, v10, 0, s7
	v_cndmask_b32_e64 v9, v9, s11, s7
	s_delay_alu instid0(VALU_DEP_1) | instskip(SKIP_1) | instid1(VALU_DEP_4)
	v_cndmask_b32_e32 v7, v9, v7, vcc_lo
	v_cmp_gt_i32_e32 vcc_lo, 0, v8
	v_cndmask_b32_e32 v8, v8, v10, vcc_lo
	s_delay_alu instid0(VALU_DEP_1)
	v_dual_add_nc_u32 v7, v7, v6 :: v_dual_add_nc_u32 v8, v8, v6
.LBB7_6:                                ;   in Loop: Header=BB7_4 Depth=1
	s_and_not1_b32 vcc_lo, exec_lo, s2
	s_cbranch_vccnz .LBB7_3
; %bb.7:                                ;   in Loop: Header=BB7_4 Depth=1
	v_subrev_nc_u32_e32 v8, s13, v4
	s_delay_alu instid0(VALU_DEP_1) | instskip(NEXT) | instid1(VALU_DEP_1)
	v_add_nc_u32_e32 v10, s5, v8
	v_cndmask_b32_e64 v10, v10, 0, s7
	v_add_nc_u32_e32 v7, s13, v4
	s_delay_alu instid0(VALU_DEP_1) | instskip(SKIP_1) | instid1(VALU_DEP_2)
	v_subrev_nc_u32_e32 v9, s5, v7
	v_cmp_gt_i32_e32 vcc_lo, s5, v7
	v_cndmask_b32_e64 v9, v9, s12, s7
	s_delay_alu instid0(VALU_DEP_1) | instskip(SKIP_1) | instid1(VALU_DEP_2)
	v_cndmask_b32_e32 v7, v9, v7, vcc_lo
	v_cmp_gt_i32_e32 vcc_lo, 0, v8
	v_mad_u32 v7, v7, s4, v5
	v_cndmask_b32_e32 v8, v8, v10, vcc_lo
	s_delay_alu instid0(VALU_DEP_1)
	v_mad_u32 v8, v8, s4, v5
	s_branch .LBB7_3
.LBB7_8:
	s_wait_xcnt 0x0
	s_load_b64 s[0:1], s[0:1], 0x20
	v_cndmask_b32_e64 v2, 0, 1, s3
	s_wait_kmcnt 0x0
	v_add_nc_u64_e32 v[0:1], s[0:1], v[0:1]
	global_store_b8 v[0:1], v2, off
.LBB7_9:
	s_endpgm
	.section	.rodata,"a",@progbits
	.p2align	6, 0x0
	.amdhsa_kernel _Z13relextrema_2DIdEviiibiPKT_Pb
		.amdhsa_group_segment_fixed_size 0
		.amdhsa_private_segment_fixed_size 0
		.amdhsa_kernarg_size 296
		.amdhsa_user_sgpr_count 2
		.amdhsa_user_sgpr_dispatch_ptr 0
		.amdhsa_user_sgpr_queue_ptr 0
		.amdhsa_user_sgpr_kernarg_segment_ptr 1
		.amdhsa_user_sgpr_dispatch_id 0
		.amdhsa_user_sgpr_kernarg_preload_length 0
		.amdhsa_user_sgpr_kernarg_preload_offset 0
		.amdhsa_user_sgpr_private_segment_size 0
		.amdhsa_wavefront_size32 1
		.amdhsa_uses_dynamic_stack 0
		.amdhsa_enable_private_segment 0
		.amdhsa_system_sgpr_workgroup_id_x 1
		.amdhsa_system_sgpr_workgroup_id_y 1
		.amdhsa_system_sgpr_workgroup_id_z 0
		.amdhsa_system_sgpr_workgroup_info 0
		.amdhsa_system_vgpr_workitem_id 1
		.amdhsa_next_free_vgpr 14
		.amdhsa_next_free_sgpr 14
		.amdhsa_named_barrier_count 0
		.amdhsa_reserve_vcc 1
		.amdhsa_float_round_mode_32 0
		.amdhsa_float_round_mode_16_64 0
		.amdhsa_float_denorm_mode_32 3
		.amdhsa_float_denorm_mode_16_64 3
		.amdhsa_fp16_overflow 0
		.amdhsa_memory_ordered 1
		.amdhsa_forward_progress 1
		.amdhsa_inst_pref_size 5
		.amdhsa_round_robin_scheduling 0
		.amdhsa_exception_fp_ieee_invalid_op 0
		.amdhsa_exception_fp_denorm_src 0
		.amdhsa_exception_fp_ieee_div_zero 0
		.amdhsa_exception_fp_ieee_overflow 0
		.amdhsa_exception_fp_ieee_underflow 0
		.amdhsa_exception_fp_ieee_inexact 0
		.amdhsa_exception_int_div_zero 0
	.end_amdhsa_kernel
	.section	.text._Z13relextrema_2DIdEviiibiPKT_Pb,"axG",@progbits,_Z13relextrema_2DIdEviiibiPKT_Pb,comdat
.Lfunc_end7:
	.size	_Z13relextrema_2DIdEviiibiPKT_Pb, .Lfunc_end7-_Z13relextrema_2DIdEviiibiPKT_Pb
                                        ; -- End function
	.set _Z13relextrema_2DIdEviiibiPKT_Pb.num_vgpr, 14
	.set _Z13relextrema_2DIdEviiibiPKT_Pb.num_agpr, 0
	.set _Z13relextrema_2DIdEviiibiPKT_Pb.numbered_sgpr, 14
	.set _Z13relextrema_2DIdEviiibiPKT_Pb.num_named_barrier, 0
	.set _Z13relextrema_2DIdEviiibiPKT_Pb.private_seg_size, 0
	.set _Z13relextrema_2DIdEviiibiPKT_Pb.uses_vcc, 1
	.set _Z13relextrema_2DIdEviiibiPKT_Pb.uses_flat_scratch, 0
	.set _Z13relextrema_2DIdEviiibiPKT_Pb.has_dyn_sized_stack, 0
	.set _Z13relextrema_2DIdEviiibiPKT_Pb.has_recursion, 0
	.set _Z13relextrema_2DIdEviiibiPKT_Pb.has_indirect_call, 0
	.section	.AMDGPU.csdata,"",@progbits
; Kernel info:
; codeLenInByte = 576
; TotalNumSgprs: 16
; NumVgprs: 14
; ScratchSize: 0
; MemoryBound: 0
; FloatMode: 240
; IeeeMode: 1
; LDSByteSize: 0 bytes/workgroup (compile time only)
; SGPRBlocks: 0
; VGPRBlocks: 0
; NumSGPRsForWavesPerEU: 16
; NumVGPRsForWavesPerEU: 14
; NamedBarCnt: 0
; Occupancy: 16
; WaveLimiterHint : 0
; COMPUTE_PGM_RSRC2:SCRATCH_EN: 0
; COMPUTE_PGM_RSRC2:USER_SGPR: 2
; COMPUTE_PGM_RSRC2:TRAP_HANDLER: 0
; COMPUTE_PGM_RSRC2:TGID_X_EN: 1
; COMPUTE_PGM_RSRC2:TGID_Y_EN: 1
; COMPUTE_PGM_RSRC2:TGID_Z_EN: 0
; COMPUTE_PGM_RSRC2:TIDIG_COMP_CNT: 1
	.section	.AMDGPU.gpr_maximums,"",@progbits
	.set amdgpu.max_num_vgpr, 0
	.set amdgpu.max_num_agpr, 0
	.set amdgpu.max_num_sgpr, 0
	.section	.AMDGPU.csdata,"",@progbits
	.type	__hip_cuid_2df97bda867dda4a,@object ; @__hip_cuid_2df97bda867dda4a
	.section	.bss,"aw",@nobits
	.globl	__hip_cuid_2df97bda867dda4a
__hip_cuid_2df97bda867dda4a:
	.byte	0                               ; 0x0
	.size	__hip_cuid_2df97bda867dda4a, 1

	.ident	"AMD clang version 22.0.0git (https://github.com/RadeonOpenCompute/llvm-project roc-7.2.4 26084 f58b06dce1f9c15707c5f808fd002e18c2accf7e)"
	.section	".note.GNU-stack","",@progbits
	.addrsig
	.addrsig_sym __hip_cuid_2df97bda867dda4a
	.amdgpu_metadata
---
amdhsa.kernels:
  - .args:
      - .offset:         0
        .size:           4
        .value_kind:     by_value
      - .offset:         4
        .size:           4
        .value_kind:     by_value
      - .offset:         8
        .size:           1
        .value_kind:     by_value
      - .actual_access:  read_only
        .address_space:  global
        .offset:         16
        .size:           8
        .value_kind:     global_buffer
      - .actual_access:  write_only
        .address_space:  global
        .offset:         24
        .size:           8
        .value_kind:     global_buffer
      - .offset:         32
        .size:           4
        .value_kind:     hidden_block_count_x
      - .offset:         36
        .size:           4
        .value_kind:     hidden_block_count_y
      - .offset:         40
        .size:           4
        .value_kind:     hidden_block_count_z
      - .offset:         44
        .size:           2
        .value_kind:     hidden_group_size_x
      - .offset:         46
        .size:           2
        .value_kind:     hidden_group_size_y
      - .offset:         48
        .size:           2
        .value_kind:     hidden_group_size_z
      - .offset:         50
        .size:           2
        .value_kind:     hidden_remainder_x
      - .offset:         52
        .size:           2
        .value_kind:     hidden_remainder_y
      - .offset:         54
        .size:           2
        .value_kind:     hidden_remainder_z
      - .offset:         72
        .size:           8
        .value_kind:     hidden_global_offset_x
      - .offset:         80
        .size:           8
        .value_kind:     hidden_global_offset_y
      - .offset:         88
        .size:           8
        .value_kind:     hidden_global_offset_z
      - .offset:         96
        .size:           2
        .value_kind:     hidden_grid_dims
    .group_segment_fixed_size: 0
    .kernarg_segment_align: 8
    .kernarg_segment_size: 288
    .language:       OpenCL C
    .language_version:
      - 2
      - 0
    .max_flat_workgroup_size: 1024
    .name:           _Z13relextrema_1DIiEviibPKT_Pb
    .private_segment_fixed_size: 0
    .sgpr_count:     31
    .sgpr_spill_count: 0
    .symbol:         _Z13relextrema_1DIiEviibPKT_Pb.kd
    .uniform_work_group_size: 1
    .uses_dynamic_stack: false
    .vgpr_count:     17
    .vgpr_spill_count: 0
    .wavefront_size: 32
  - .args:
      - .offset:         0
        .size:           4
        .value_kind:     by_value
      - .offset:         4
        .size:           4
        .value_kind:     by_value
      - .offset:         8
        .size:           1
        .value_kind:     by_value
      - .actual_access:  read_only
        .address_space:  global
        .offset:         16
        .size:           8
        .value_kind:     global_buffer
      - .actual_access:  write_only
        .address_space:  global
        .offset:         24
        .size:           8
        .value_kind:     global_buffer
      - .offset:         32
        .size:           4
        .value_kind:     hidden_block_count_x
      - .offset:         36
        .size:           4
        .value_kind:     hidden_block_count_y
      - .offset:         40
        .size:           4
        .value_kind:     hidden_block_count_z
      - .offset:         44
        .size:           2
        .value_kind:     hidden_group_size_x
      - .offset:         46
        .size:           2
        .value_kind:     hidden_group_size_y
      - .offset:         48
        .size:           2
        .value_kind:     hidden_group_size_z
      - .offset:         50
        .size:           2
        .value_kind:     hidden_remainder_x
      - .offset:         52
        .size:           2
        .value_kind:     hidden_remainder_y
      - .offset:         54
        .size:           2
        .value_kind:     hidden_remainder_z
      - .offset:         72
        .size:           8
        .value_kind:     hidden_global_offset_x
      - .offset:         80
        .size:           8
        .value_kind:     hidden_global_offset_y
      - .offset:         88
        .size:           8
        .value_kind:     hidden_global_offset_z
      - .offset:         96
        .size:           2
        .value_kind:     hidden_grid_dims
    .group_segment_fixed_size: 0
    .kernarg_segment_align: 8
    .kernarg_segment_size: 288
    .language:       OpenCL C
    .language_version:
      - 2
      - 0
    .max_flat_workgroup_size: 1024
    .name:           _Z13relextrema_1DIlEviibPKT_Pb
    .private_segment_fixed_size: 0
    .sgpr_count:     18
    .sgpr_spill_count: 0
    .symbol:         _Z13relextrema_1DIlEviibPKT_Pb.kd
    .uniform_work_group_size: 1
    .uses_dynamic_stack: false
    .vgpr_count:     18
    .vgpr_spill_count: 0
    .wavefront_size: 32
  - .args:
      - .offset:         0
        .size:           4
        .value_kind:     by_value
      - .offset:         4
        .size:           4
        .value_kind:     by_value
      - .offset:         8
        .size:           1
        .value_kind:     by_value
      - .actual_access:  read_only
        .address_space:  global
        .offset:         16
        .size:           8
        .value_kind:     global_buffer
      - .actual_access:  write_only
        .address_space:  global
        .offset:         24
        .size:           8
        .value_kind:     global_buffer
      - .offset:         32
        .size:           4
        .value_kind:     hidden_block_count_x
      - .offset:         36
        .size:           4
        .value_kind:     hidden_block_count_y
      - .offset:         40
        .size:           4
        .value_kind:     hidden_block_count_z
      - .offset:         44
        .size:           2
        .value_kind:     hidden_group_size_x
      - .offset:         46
        .size:           2
        .value_kind:     hidden_group_size_y
      - .offset:         48
        .size:           2
        .value_kind:     hidden_group_size_z
      - .offset:         50
        .size:           2
        .value_kind:     hidden_remainder_x
      - .offset:         52
        .size:           2
        .value_kind:     hidden_remainder_y
      - .offset:         54
        .size:           2
        .value_kind:     hidden_remainder_z
      - .offset:         72
        .size:           8
        .value_kind:     hidden_global_offset_x
      - .offset:         80
        .size:           8
        .value_kind:     hidden_global_offset_y
      - .offset:         88
        .size:           8
        .value_kind:     hidden_global_offset_z
      - .offset:         96
        .size:           2
        .value_kind:     hidden_grid_dims
    .group_segment_fixed_size: 0
    .kernarg_segment_align: 8
    .kernarg_segment_size: 288
    .language:       OpenCL C
    .language_version:
      - 2
      - 0
    .max_flat_workgroup_size: 1024
    .name:           _Z13relextrema_1DIfEviibPKT_Pb
    .private_segment_fixed_size: 0
    .sgpr_count:     31
    .sgpr_spill_count: 0
    .symbol:         _Z13relextrema_1DIfEviibPKT_Pb.kd
    .uniform_work_group_size: 1
    .uses_dynamic_stack: false
    .vgpr_count:     17
    .vgpr_spill_count: 0
    .wavefront_size: 32
  - .args:
      - .offset:         0
        .size:           4
        .value_kind:     by_value
      - .offset:         4
        .size:           4
        .value_kind:     by_value
      - .offset:         8
        .size:           1
        .value_kind:     by_value
      - .actual_access:  read_only
        .address_space:  global
        .offset:         16
        .size:           8
        .value_kind:     global_buffer
      - .actual_access:  write_only
        .address_space:  global
        .offset:         24
        .size:           8
        .value_kind:     global_buffer
      - .offset:         32
        .size:           4
        .value_kind:     hidden_block_count_x
      - .offset:         36
        .size:           4
        .value_kind:     hidden_block_count_y
      - .offset:         40
        .size:           4
        .value_kind:     hidden_block_count_z
      - .offset:         44
        .size:           2
        .value_kind:     hidden_group_size_x
      - .offset:         46
        .size:           2
        .value_kind:     hidden_group_size_y
      - .offset:         48
        .size:           2
        .value_kind:     hidden_group_size_z
      - .offset:         50
        .size:           2
        .value_kind:     hidden_remainder_x
      - .offset:         52
        .size:           2
        .value_kind:     hidden_remainder_y
      - .offset:         54
        .size:           2
        .value_kind:     hidden_remainder_z
      - .offset:         72
        .size:           8
        .value_kind:     hidden_global_offset_x
      - .offset:         80
        .size:           8
        .value_kind:     hidden_global_offset_y
      - .offset:         88
        .size:           8
        .value_kind:     hidden_global_offset_z
      - .offset:         96
        .size:           2
        .value_kind:     hidden_grid_dims
    .group_segment_fixed_size: 0
    .kernarg_segment_align: 8
    .kernarg_segment_size: 288
    .language:       OpenCL C
    .language_version:
      - 2
      - 0
    .max_flat_workgroup_size: 1024
    .name:           _Z13relextrema_1DIdEviibPKT_Pb
    .private_segment_fixed_size: 0
    .sgpr_count:     18
    .sgpr_spill_count: 0
    .symbol:         _Z13relextrema_1DIdEviibPKT_Pb.kd
    .uniform_work_group_size: 1
    .uses_dynamic_stack: false
    .vgpr_count:     18
    .vgpr_spill_count: 0
    .wavefront_size: 32
  - .args:
      - .offset:         0
        .size:           4
        .value_kind:     by_value
      - .offset:         4
        .size:           4
        .value_kind:     by_value
      - .offset:         8
        .size:           4
        .value_kind:     by_value
      - .offset:         12
        .size:           1
        .value_kind:     by_value
      - .offset:         16
        .size:           4
        .value_kind:     by_value
      - .actual_access:  read_only
        .address_space:  global
        .offset:         24
        .size:           8
        .value_kind:     global_buffer
      - .actual_access:  write_only
        .address_space:  global
        .offset:         32
        .size:           8
        .value_kind:     global_buffer
      - .offset:         40
        .size:           4
        .value_kind:     hidden_block_count_x
      - .offset:         44
        .size:           4
        .value_kind:     hidden_block_count_y
      - .offset:         48
        .size:           4
        .value_kind:     hidden_block_count_z
      - .offset:         52
        .size:           2
        .value_kind:     hidden_group_size_x
      - .offset:         54
        .size:           2
        .value_kind:     hidden_group_size_y
      - .offset:         56
        .size:           2
        .value_kind:     hidden_group_size_z
      - .offset:         58
        .size:           2
        .value_kind:     hidden_remainder_x
      - .offset:         60
        .size:           2
        .value_kind:     hidden_remainder_y
      - .offset:         62
        .size:           2
        .value_kind:     hidden_remainder_z
      - .offset:         80
        .size:           8
        .value_kind:     hidden_global_offset_x
      - .offset:         88
        .size:           8
        .value_kind:     hidden_global_offset_y
      - .offset:         96
        .size:           8
        .value_kind:     hidden_global_offset_z
      - .offset:         104
        .size:           2
        .value_kind:     hidden_grid_dims
    .group_segment_fixed_size: 0
    .kernarg_segment_align: 8
    .kernarg_segment_size: 296
    .language:       OpenCL C
    .language_version:
      - 2
      - 0
    .max_flat_workgroup_size: 1024
    .name:           _Z13relextrema_2DIiEviiibiPKT_Pb
    .private_segment_fixed_size: 0
    .sgpr_count:     50
    .sgpr_spill_count: 0
    .symbol:         _Z13relextrema_2DIiEviiibiPKT_Pb.kd
    .uniform_work_group_size: 1
    .uses_dynamic_stack: false
    .vgpr_count:     44
    .vgpr_spill_count: 0
    .wavefront_size: 32
  - .args:
      - .offset:         0
        .size:           4
        .value_kind:     by_value
      - .offset:         4
        .size:           4
        .value_kind:     by_value
      - .offset:         8
        .size:           4
        .value_kind:     by_value
      - .offset:         12
        .size:           1
        .value_kind:     by_value
      - .offset:         16
        .size:           4
        .value_kind:     by_value
      - .actual_access:  read_only
        .address_space:  global
        .offset:         24
        .size:           8
        .value_kind:     global_buffer
      - .actual_access:  write_only
        .address_space:  global
        .offset:         32
        .size:           8
        .value_kind:     global_buffer
      - .offset:         40
        .size:           4
        .value_kind:     hidden_block_count_x
      - .offset:         44
        .size:           4
        .value_kind:     hidden_block_count_y
      - .offset:         48
        .size:           4
        .value_kind:     hidden_block_count_z
      - .offset:         52
        .size:           2
        .value_kind:     hidden_group_size_x
      - .offset:         54
        .size:           2
        .value_kind:     hidden_group_size_y
      - .offset:         56
        .size:           2
        .value_kind:     hidden_group_size_z
      - .offset:         58
        .size:           2
        .value_kind:     hidden_remainder_x
      - .offset:         60
        .size:           2
        .value_kind:     hidden_remainder_y
      - .offset:         62
        .size:           2
        .value_kind:     hidden_remainder_z
      - .offset:         80
        .size:           8
        .value_kind:     hidden_global_offset_x
      - .offset:         88
        .size:           8
        .value_kind:     hidden_global_offset_y
      - .offset:         96
        .size:           8
        .value_kind:     hidden_global_offset_z
      - .offset:         104
        .size:           2
        .value_kind:     hidden_grid_dims
    .group_segment_fixed_size: 0
    .kernarg_segment_align: 8
    .kernarg_segment_size: 296
    .language:       OpenCL C
    .language_version:
      - 2
      - 0
    .max_flat_workgroup_size: 1024
    .name:           _Z13relextrema_2DIlEviiibiPKT_Pb
    .private_segment_fixed_size: 0
    .sgpr_count:     16
    .sgpr_spill_count: 0
    .symbol:         _Z13relextrema_2DIlEviiibiPKT_Pb.kd
    .uniform_work_group_size: 1
    .uses_dynamic_stack: false
    .vgpr_count:     14
    .vgpr_spill_count: 0
    .wavefront_size: 32
  - .args:
      - .offset:         0
        .size:           4
        .value_kind:     by_value
      - .offset:         4
        .size:           4
        .value_kind:     by_value
      - .offset:         8
        .size:           4
        .value_kind:     by_value
      - .offset:         12
        .size:           1
        .value_kind:     by_value
      - .offset:         16
        .size:           4
        .value_kind:     by_value
      - .actual_access:  read_only
        .address_space:  global
        .offset:         24
        .size:           8
        .value_kind:     global_buffer
      - .actual_access:  write_only
        .address_space:  global
        .offset:         32
        .size:           8
        .value_kind:     global_buffer
      - .offset:         40
        .size:           4
        .value_kind:     hidden_block_count_x
      - .offset:         44
        .size:           4
        .value_kind:     hidden_block_count_y
      - .offset:         48
        .size:           4
        .value_kind:     hidden_block_count_z
      - .offset:         52
        .size:           2
        .value_kind:     hidden_group_size_x
      - .offset:         54
        .size:           2
        .value_kind:     hidden_group_size_y
      - .offset:         56
        .size:           2
        .value_kind:     hidden_group_size_z
      - .offset:         58
        .size:           2
        .value_kind:     hidden_remainder_x
      - .offset:         60
        .size:           2
        .value_kind:     hidden_remainder_y
      - .offset:         62
        .size:           2
        .value_kind:     hidden_remainder_z
      - .offset:         80
        .size:           8
        .value_kind:     hidden_global_offset_x
      - .offset:         88
        .size:           8
        .value_kind:     hidden_global_offset_y
      - .offset:         96
        .size:           8
        .value_kind:     hidden_global_offset_z
      - .offset:         104
        .size:           2
        .value_kind:     hidden_grid_dims
    .group_segment_fixed_size: 0
    .kernarg_segment_align: 8
    .kernarg_segment_size: 296
    .language:       OpenCL C
    .language_version:
      - 2
      - 0
    .max_flat_workgroup_size: 1024
    .name:           _Z13relextrema_2DIfEviiibiPKT_Pb
    .private_segment_fixed_size: 0
    .sgpr_count:     50
    .sgpr_spill_count: 0
    .symbol:         _Z13relextrema_2DIfEviiibiPKT_Pb.kd
    .uniform_work_group_size: 1
    .uses_dynamic_stack: false
    .vgpr_count:     44
    .vgpr_spill_count: 0
    .wavefront_size: 32
  - .args:
      - .offset:         0
        .size:           4
        .value_kind:     by_value
      - .offset:         4
        .size:           4
        .value_kind:     by_value
      - .offset:         8
        .size:           4
        .value_kind:     by_value
      - .offset:         12
        .size:           1
        .value_kind:     by_value
      - .offset:         16
        .size:           4
        .value_kind:     by_value
      - .actual_access:  read_only
        .address_space:  global
        .offset:         24
        .size:           8
        .value_kind:     global_buffer
      - .actual_access:  write_only
        .address_space:  global
        .offset:         32
        .size:           8
        .value_kind:     global_buffer
      - .offset:         40
        .size:           4
        .value_kind:     hidden_block_count_x
      - .offset:         44
        .size:           4
        .value_kind:     hidden_block_count_y
      - .offset:         48
        .size:           4
        .value_kind:     hidden_block_count_z
      - .offset:         52
        .size:           2
        .value_kind:     hidden_group_size_x
      - .offset:         54
        .size:           2
        .value_kind:     hidden_group_size_y
      - .offset:         56
        .size:           2
        .value_kind:     hidden_group_size_z
      - .offset:         58
        .size:           2
        .value_kind:     hidden_remainder_x
      - .offset:         60
        .size:           2
        .value_kind:     hidden_remainder_y
      - .offset:         62
        .size:           2
        .value_kind:     hidden_remainder_z
      - .offset:         80
        .size:           8
        .value_kind:     hidden_global_offset_x
      - .offset:         88
        .size:           8
        .value_kind:     hidden_global_offset_y
      - .offset:         96
        .size:           8
        .value_kind:     hidden_global_offset_z
      - .offset:         104
        .size:           2
        .value_kind:     hidden_grid_dims
    .group_segment_fixed_size: 0
    .kernarg_segment_align: 8
    .kernarg_segment_size: 296
    .language:       OpenCL C
    .language_version:
      - 2
      - 0
    .max_flat_workgroup_size: 1024
    .name:           _Z13relextrema_2DIdEviiibiPKT_Pb
    .private_segment_fixed_size: 0
    .sgpr_count:     16
    .sgpr_spill_count: 0
    .symbol:         _Z13relextrema_2DIdEviiibiPKT_Pb.kd
    .uniform_work_group_size: 1
    .uses_dynamic_stack: false
    .vgpr_count:     14
    .vgpr_spill_count: 0
    .wavefront_size: 32
amdhsa.target:   amdgcn-amd-amdhsa--gfx1250
amdhsa.version:
  - 1
  - 2
...

	.end_amdgpu_metadata
